;; amdgpu-corpus repo=ROCm/bitsandbytes kind=harvested arch=n/a opt=n/a
	.text
	.amdgcn_target "amdgcn-amd-amdhsa--gfx90a"
	.amdhsa_code_object_version 6
	.protected	_Z26kOptimizerStatic8bit2StateI6__halfLi0EEvPT_S2_PhS3_PKffffffifPfS6_S6_S6_S6_S6_ffi ; -- Begin function _Z26kOptimizerStatic8bit2StateI6__halfLi0EEvPT_S2_PhS3_PKffffffifPfS6_S6_S6_S6_S6_ffi
	.globl	_Z26kOptimizerStatic8bit2StateI6__halfLi0EEvPT_S2_PhS3_PKffffffifPfS6_S6_S6_S6_S6_ffi
	.p2align	8
	.type	_Z26kOptimizerStatic8bit2StateI6__halfLi0EEvPT_S2_PhS3_PKffffffifPfS6_S6_S6_S6_S6_ffi,@function
_Z26kOptimizerStatic8bit2StateI6__halfLi0EEvPT_S2_PhS3_PKffffffifPfS6_S6_S6_S6_S6_ffi: ; @_Z26kOptimizerStatic8bit2StateI6__halfLi0EEvPT_S2_PhS3_PKffffffifPfS6_S6_S6_S6_S6_ffi
; %bb.0:
	s_load_dwordx8 s[12:19], s[4:5], 0x28
	s_load_dwordx8 s[36:43], s[4:5], 0x0
	s_load_dwordx2 s[0:1], s[4:5], 0x20
	s_load_dwordx8 s[20:27], s[4:5], 0x58
	v_mov_b32_e32 v16, 1.0
	s_waitcnt lgkmcnt(0)
	v_cmp_ngt_f32_e64 s[2:3], s12, 0
	s_and_b64 vcc, exec, s[2:3]
	s_cbranch_vccnz .LBB92_3
; %bb.1:
	s_load_dword s0, s[0:1], 0x0
	v_mov_b32_e32 v1, 0xf800000
	v_mov_b32_e32 v2, 0x4f800000
	v_mov_b32_e32 v16, 1.0
	s_waitcnt lgkmcnt(0)
	v_mul_f32_e32 v2, s0, v2
	v_mov_b32_e32 v3, s0
	v_cmp_lt_f32_e32 vcc, s0, v1
	v_cndmask_b32_e32 v1, v3, v2, vcc
	v_sqrt_f32_e32 v2, v1
	v_add_u32_e32 v3, -1, v2
	v_add_u32_e32 v4, 1, v2
	v_fma_f32 v5, -v3, v2, v1
	v_fma_f32 v6, -v4, v2, v1
	v_cmp_ge_f32_e64 s[0:1], 0, v5
	v_cndmask_b32_e64 v2, v2, v3, s[0:1]
	v_cmp_lt_f32_e64 s[0:1], 0, v6
	v_cndmask_b32_e64 v2, v2, v4, s[0:1]
	v_mul_f32_e32 v3, 0x37800000, v2
	v_cndmask_b32_e32 v2, v2, v3, vcc
	v_mov_b32_e32 v3, 0x260
	v_cmp_class_f32_e32 vcc, v1, v3
	v_cndmask_b32_e32 v1, v2, v1, vcc
	v_mov_b32_e32 v2, s13
	v_mul_f32_e32 v2, s12, v2
	v_cmp_ngt_f32_e32 vcc, v1, v2
	s_cbranch_vccnz .LBB92_3
; %bb.2:
	v_div_scale_f32 v3, s[0:1], v1, v1, v2
	v_rcp_f32_e32 v4, v3
	v_div_scale_f32 v5, vcc, v2, v1, v2
	v_fma_f32 v6, -v3, v4, 1.0
	v_fmac_f32_e32 v4, v6, v4
	v_mul_f32_e32 v6, v5, v4
	v_fma_f32 v7, -v3, v6, v5
	v_fmac_f32_e32 v6, v7, v4
	v_fma_f32 v3, -v3, v6, v5
	v_div_fmas_f32 v3, v3, v4, v6
	v_div_fixup_f32 v16, v3, v1, v2
.LBB92_3:
	s_load_dword s10, s[24:25], 0x0
	s_load_dword s9, s[26:27], 0x0
	;; [unrolled: 1-line block ×4, first 2 shown]
	s_movk_i32 s0, 0x200
	v_cmp_gt_u32_e32 vcc, s0, v0
	s_and_saveexec_b64 s[0:1], vcc
	s_cbranch_execz .LBB92_8
; %bb.4:
	s_movk_i32 s2, 0xff
	v_cmp_lt_u32_e32 vcc, s2, v0
	s_and_saveexec_b64 s[2:3], vcc
	s_xor_b64 s[2:3], exec, s[2:3]
	s_cbranch_execz .LBB92_6
; %bb.5:
	s_load_dwordx2 s[12:13], s[4:5], 0x50
	v_add_u32_e32 v2, 0xffffff00, v0
	v_mov_b32_e32 v3, 0
	v_lshlrev_b64 v[4:5], 2, v[2:3]
	v_lshlrev_b32_e32 v2, 2, v2
	s_waitcnt lgkmcnt(0)
	v_mov_b32_e32 v1, s13
	v_add_co_u32_e32 v4, vcc, s12, v4
	v_addc_co_u32_e32 v5, vcc, v1, v5, vcc
	global_load_dword v1, v[4:5], off
	s_waitcnt vmcnt(0)
	ds_write_b32 v2, v1 offset:9472
.LBB92_6:
	s_andn2_saveexec_b64 s[2:3], s[2:3]
	s_cbranch_execz .LBB92_8
; %bb.7:
	s_load_dwordx2 s[2:3], s[4:5], 0x48
	v_lshlrev_b32_e32 v1, 2, v0
	s_waitcnt lgkmcnt(0)
	global_load_dword v2, v1, s[2:3]
	s_waitcnt vmcnt(0)
	ds_write_b32 v1, v2 offset:8448
.LBB92_8:
	s_or_b64 exec, exec, s[0:1]
	s_waitcnt lgkmcnt(0)
	s_and_b32 s0, 0xffff, s7
	s_mul_i32 s1, s8, s0
	s_mul_i32 s6, s6, s0
	s_lshl_b32 s31, s1, 2
	s_lshl_b32 s28, s6, 2
	s_mov_b32 s30, 0xffff
	s_cmp_ge_u32 s28, s31
	s_barrier
	s_cbranch_scc1 .LBB92_173
; %bb.9:
	v_cvt_f32_i32_e32 v17, s17
	v_cmp_neq_f32_e64 vcc, s14, 1.0
	v_mov_b32_e32 v20, s14
	s_mov_b32 s17, 0x3f2aaaab
	v_cndmask_b32_e32 v21, 1.0, v17, vcc
	v_cmp_eq_f32_e32 vcc, 0, v21
	v_cndmask_b32_e64 v22, |v20|, 1.0, vcc
	v_frexp_mant_f32_e32 v1, v22
	v_cmp_gt_f32_e64 s[0:1], s17, v1
	v_cndmask_b32_e64 v2, 1.0, 2.0, s[0:1]
	v_mul_f32_e32 v1, v1, v2
	v_add_f32_e32 v2, 1.0, v1
	v_rcp_f32_e32 v10, v2
	v_add_f32_e32 v3, -1.0, v2
	v_sub_f32_e32 v5, v1, v3
	v_add_f32_e32 v3, -1.0, v1
	v_mul_f32_e32 v1, v3, v10
	v_mul_f32_e32 v4, v2, v1
	v_fma_f32 v6, v1, v2, -v4
	v_fmac_f32_e32 v6, v1, v5
	v_add_f32_e32 v2, v4, v6
	v_sub_f32_e32 v5, v3, v2
	v_pk_add_f32 v[8:9], v[2:3], v[4:5] neg_lo:[0,1] neg_hi:[0,1]
	v_mov_b32_e32 v7, v2
	v_pk_add_f32 v[2:3], v[8:9], v[6:7] neg_lo:[0,1] neg_hi:[0,1]
	v_add_f32_e32 v2, v2, v3
	v_add_f32_e32 v2, v5, v2
	v_mul_f32_e32 v3, v10, v2
	v_add_f32_e32 v2, v1, v3
	v_sub_f32_e32 v1, v2, v1
	v_sub_f32_e32 v1, v3, v1
	v_mul_f32_e32 v3, v2, v2
	v_fma_f32 v5, v2, v2, -v3
	v_add_f32_e32 v4, v1, v1
	v_fmac_f32_e32 v5, v2, v4
	v_add_f32_e32 v4, v3, v5
	v_mov_b32_e32 v6, 0x3e91f4c4
	v_fmac_f32_e32 v6, 0x3e76c4e1, v4
	v_mov_b32_e32 v24, 0x3ecccdef
	v_fma_f32 v6, v4, v6, v24
	v_sub_f32_e32 v3, v4, v3
	v_sub_f32_e32 v12, v5, v3
	v_mul_f32_e32 v3, v4, v6
	v_fma_f32 v5, v4, v6, -v3
	v_fmac_f32_e32 v5, v12, v6
	v_add_f32_e32 v6, v3, v5
	v_add_f32_e32 v7, 0x3f2aaaaa, v6
	v_sub_f32_e32 v3, v6, v3
	v_sub_f32_e32 v3, v5, v3
	v_add_f32_e32 v5, 0xbf2aaaaa, v7
	v_add_f32_e32 v3, 0x31739010, v3
	v_sub_f32_e32 v5, v6, v5
	v_pk_mul_f32 v[8:9], v[2:3], v[4:5]
	v_fma_f32 v6, v4, v2, -v8
	v_pk_add_f32 v[10:11], v[2:3], v[4:5]
	v_fmac_f32_e32 v6, v4, v1
	v_mov_b32_e32 v9, v11
	v_fmac_f32_e32 v6, v12, v2
	v_pk_add_f32 v[4:5], v[8:9], v[6:7]
	v_sub_f32_e32 v3, v4, v8
	v_sub_f32_e32 v3, v6, v3
	;; [unrolled: 1-line block ×3, first 2 shown]
	v_add_f32_e32 v9, v11, v6
	v_mov_b32_e32 v6, v5
	v_pk_mul_f32 v[6:7], v[4:5], v[6:7]
	v_cvt_f64_f32_e32 v[10:11], v22
	v_frexp_exp_i32_f64_e32 v7, v[10:11]
	v_subbrev_co_u32_e64 v7, s[0:1], 0, v7, s[0:1]
	v_cvt_f32_i32_e32 v7, v7
	v_fma_f32 v8, v4, v5, -v6
	v_fmac_f32_e32 v8, v4, v9
	s_mov_b32 s19, 0x3f317218
	v_mul_f32_e32 v4, 0x3f317218, v7
	v_fmac_f32_e32 v8, v3, v5
	v_fma_f32 v10, v7, s19, -v4
	v_fmac_f32_e32 v10, 0xb102e308, v7
	v_ldexp_f32 v11, v2, 1
	v_add_f32_e32 v5, v6, v8
	v_pk_add_f32 v[2:3], v[4:5], v[10:11]
	v_mov_b32_e32 v12, v5
	v_mov_b32_e32 v13, v3
	;; [unrolled: 1-line block ×3, first 2 shown]
	v_pk_add_f32 v[6:7], v[12:13], v[6:7] neg_lo:[0,1] neg_hi:[0,1]
	v_mov_b32_e32 v9, v5
	v_ldexp_f32 v1, v1, 1
	v_pk_add_f32 v[6:7], v[8:9], v[6:7] neg_lo:[0,1] neg_hi:[0,1]
	v_add_f32_e32 v1, v1, v6
	v_add_f32_e32 v5, v1, v7
	v_pk_add_f32 v[6:7], v[2:3], v[4:5] neg_lo:[0,1] neg_hi:[0,1]
	v_pk_add_f32 v[8:9], v[2:3], v[4:5]
	v_mov_b32_e32 v12, v6
	v_mov_b32_e32 v13, v9
	;; [unrolled: 1-line block ×3, first 2 shown]
	v_pk_add_f32 v[12:13], v[10:11], v[12:13]
	v_mov_b32_e32 v4, v13
	v_pk_add_f32 v[14:15], v[4:5], v[2:3] neg_lo:[0,1] neg_hi:[0,1]
	v_mov_b32_e32 v1, v14
	v_mov_b32_e32 v12, v9
	;; [unrolled: 1-line block ×4, first 2 shown]
	v_pk_add_f32 v[6:7], v[10:11], v[6:7] neg_lo:[0,1] neg_hi:[0,1]
	v_pk_add_f32 v[18:19], v[8:9], v[0:1] neg_lo:[0,1] neg_hi:[0,1]
	;; [unrolled: 1-line block ×3, first 2 shown]
	v_mov_b32_e32 v10, v5
	v_pk_add_f32 v[2:3], v[10:11], v[2:3] neg_lo:[0,1] neg_hi:[0,1]
	v_mov_b32_e32 v18, v6
	v_pk_add_f32 v[8:9], v[18:19], v[2:3]
	v_mov_b32_e32 v10, v9
	v_pk_add_f32 v[10:11], v[8:9], v[10:11]
	v_pk_add_f32 v[4:5], v[4:5], v[10:11]
	v_mov_b32_e32 v7, v13
	v_mov_b32_e32 v9, v4
	v_pk_add_f32 v[12:13], v[8:9], v[6:7] neg_lo:[0,1] neg_hi:[0,1]
	v_mov_b32_e32 v3, v10
	v_sub_f32_e32 v1, v8, v12
	v_pk_add_f32 v[2:3], v[2:3], v[12:13] neg_lo:[0,1] neg_hi:[0,1]
	v_sub_f32_e32 v1, v6, v1
	v_add_f32_e32 v1, v2, v1
	v_add_f32_e32 v1, v1, v3
	;; [unrolled: 1-line block ×3, first 2 shown]
	v_sub_f32_e32 v3, v2, v4
	v_sub_f32_e32 v1, v1, v3
	v_mul_f32_e32 v3, v21, v2
	v_fma_f32 v2, v21, v2, -v3
	v_fmac_f32_e32 v2, v21, v1
	s_movk_i32 s12, 0x204
	v_add_f32_e32 v1, v3, v2
	v_cmp_class_f32_e64 s[0:1], v3, s12
	v_sub_f32_e32 v4, v1, v3
	v_cndmask_b32_e64 v1, v1, v3, s[0:1]
	s_mov_b32 s13, 0x42b17218
	v_mov_b32_e32 v25, 0x37000000
	v_cmp_eq_f32_e64 s[0:1], s13, v1
	v_cndmask_b32_e64 v3, 0, v25, s[0:1]
	v_sub_f32_e32 v2, v2, v4
	v_sub_f32_e32 v4, v1, v3
	s_mov_b32 s24, 0x3fb8aa3b
	v_mul_f32_e32 v5, 0x3fb8aa3b, v4
	v_fma_f32 v6, v4, s24, -v5
	v_rndne_f32_e32 v7, v5
	v_fmac_f32_e32 v6, 0x32a5705f, v4
	v_sub_f32_e32 v5, v5, v7
	v_add_f32_e32 v5, v5, v6
	v_exp_f32_e32 v5, v5
	v_cvt_i32_f32_e32 v6, v7
	s_mov_b32 s11, 0x7f800000
	v_cmp_neq_f32_e64 s[0:1], |v1|, s11
	s_mov_b32 s25, 0xc2ce8ed0
	v_cndmask_b32_e64 v1, 0, v2, s[0:1]
	v_ldexp_f32 v2, v5, v6
	v_cmp_ngt_f32_e64 s[0:1], s25, v4
	v_cndmask_b32_e64 v2, 0, v2, s[0:1]
	v_mov_b32_e32 v26, 0x7f800000
	v_cmp_nlt_f32_e64 s[0:1], s13, v4
	v_add_f32_e32 v1, v3, v1
	v_cndmask_b32_e64 v2, v26, v2, s[0:1]
	v_fma_f32 v1, v2, v1, v2
	v_cmp_class_f32_e64 s[0:1], v2, s12
	v_trunc_f32_e32 v3, v21
	v_cndmask_b32_e64 v2, v1, v2, s[0:1]
	v_cndmask_b32_e64 v1, v20, 1.0, vcc
	v_cmp_eq_f32_e32 vcc, v3, v21
	v_mul_f32_e32 v3, 0.5, v21
	v_trunc_f32_e32 v4, v3
	v_cmp_neq_f32_e64 s[0:1], v4, v3
	s_and_b64 s[0:1], vcc, s[0:1]
	v_cndmask_b32_e64 v3, 1.0, v1, s[0:1]
	s_brev_b32 s26, -2
	v_mov_b32_e32 v20, 0x7fc00000
	v_bfi_b32 v2, s26, v2, v3
	v_cmp_eq_f32_e64 s[2:3], 0, v1
	v_cmp_gt_f32_e64 s[6:7], 0, v21
	v_cndmask_b32_e32 v3, v20, v2, vcc
	v_cmp_gt_f32_e32 vcc, 0, v1
	s_xor_b64 s[6:7], s[6:7], s[2:3]
	v_cndmask_b32_e32 v2, v2, v3, vcc
	v_cmp_eq_f32_e32 vcc, s11, v22
	v_cndmask_b32_e64 v3, v26, 0, s[6:7]
	v_cndmask_b32_e64 v4, 0, v1, s[0:1]
	v_bfi_b32 v3, s26, v3, v4
	s_or_b64 vcc, vcc, s[2:3]
	v_cndmask_b32_e32 v21, v2, v3, vcc
	v_cmp_neq_f32_e64 vcc, s15, 1.0
	v_cndmask_b32_e32 v17, 1.0, v17, vcc
	v_mov_b32_e32 v22, s15
	v_cmp_eq_f32_e32 vcc, 0, v17
	v_cndmask_b32_e64 v27, |v22|, 1.0, vcc
	v_frexp_mant_f32_e32 v2, v27
	v_cmp_gt_f32_e64 s[0:1], s17, v2
	v_cndmask_b32_e64 v3, 1.0, 2.0, s[0:1]
	v_mul_f32_e32 v2, v2, v3
	v_add_f32_e32 v5, 1.0, v2
	v_rcp_f32_e32 v10, v5
	v_add_f32_e32 v3, -1.0, v5
	v_sub_f32_e32 v7, v2, v3
	v_add_f32_e32 v3, -1.0, v2
	v_mul_f32_e32 v11, v3, v10
	v_mul_f32_e32 v4, v5, v11
	v_fma_f32 v6, v11, v5, -v4
	v_fmac_f32_e32 v6, v11, v7
	v_add_f32_e32 v2, v4, v6
	v_sub_f32_e32 v5, v3, v2
	v_pk_add_f32 v[8:9], v[2:3], v[4:5] neg_lo:[0,1] neg_hi:[0,1]
	v_mov_b32_e32 v7, v2
	v_pk_add_f32 v[2:3], v[8:9], v[6:7] neg_lo:[0,1] neg_hi:[0,1]
	v_add_f32_e32 v2, v2, v3
	v_add_f32_e32 v2, v5, v2
	v_mul_f32_e32 v3, v10, v2
	v_add_f32_e32 v2, v11, v3
	v_sub_f32_e32 v4, v2, v11
	v_sub_f32_e32 v12, v3, v4
	v_mul_f32_e32 v3, v2, v2
	v_fma_f32 v5, v2, v2, -v3
	v_add_f32_e32 v4, v12, v12
	v_fmac_f32_e32 v5, v2, v4
	v_mov_b32_e32 v23, 0x3e91f4c4
	v_add_f32_e32 v4, v3, v5
	v_fmac_f32_e32 v23, 0x3e76c4e1, v4
	v_fmac_f32_e32 v24, v4, v23
	v_sub_f32_e32 v3, v4, v3
	v_sub_f32_e32 v13, v5, v3
	v_mul_f32_e32 v3, v4, v24
	v_fma_f32 v5, v4, v24, -v3
	v_fmac_f32_e32 v5, v13, v24
	v_add_f32_e32 v6, v3, v5
	v_add_f32_e32 v7, 0x3f2aaaaa, v6
	v_sub_f32_e32 v3, v6, v3
	v_sub_f32_e32 v3, v5, v3
	v_add_f32_e32 v5, 0xbf2aaaaa, v7
	v_add_f32_e32 v3, 0x31739010, v3
	v_sub_f32_e32 v5, v6, v5
	v_pk_mul_f32 v[8:9], v[2:3], v[4:5]
	v_fma_f32 v6, v4, v2, -v8
	v_pk_add_f32 v[10:11], v[2:3], v[4:5]
	v_fmac_f32_e32 v6, v4, v12
	v_mov_b32_e32 v9, v11
	v_fmac_f32_e32 v6, v13, v2
	v_pk_add_f32 v[4:5], v[8:9], v[6:7]
	v_sub_f32_e32 v3, v4, v8
	v_sub_f32_e32 v3, v6, v3
	;; [unrolled: 1-line block ×3, first 2 shown]
	v_add_f32_e32 v10, v11, v6
	v_mov_b32_e32 v6, v5
	v_pk_mul_f32 v[6:7], v[4:5], v[6:7]
	v_cvt_f64_f32_e32 v[8:9], v27
	v_frexp_exp_i32_f64_e32 v7, v[8:9]
	v_subbrev_co_u32_e64 v7, s[0:1], 0, v7, s[0:1]
	v_cvt_f32_i32_e32 v7, v7
	v_fma_f32 v8, v4, v5, -v6
	v_fmac_f32_e32 v8, v4, v10
	v_fmac_f32_e32 v8, v3, v5
	v_mul_f32_e32 v4, 0x3f317218, v7
	v_fma_f32 v10, v7, s19, -v4
	v_fmac_f32_e32 v10, 0xb102e308, v7
	v_ldexp_f32 v11, v2, 1
	v_add_f32_e32 v5, v6, v8
	v_pk_add_f32 v[2:3], v[4:5], v[10:11]
	v_ldexp_f32 v14, v12, 1
	v_mov_b32_e32 v12, v5
	v_mov_b32_e32 v13, v3
	;; [unrolled: 1-line block ×3, first 2 shown]
	v_pk_add_f32 v[6:7], v[12:13], v[6:7] neg_lo:[0,1] neg_hi:[0,1]
	v_mov_b32_e32 v9, v5
	v_pk_add_f32 v[6:7], v[8:9], v[6:7] neg_lo:[0,1] neg_hi:[0,1]
	v_add_f32_e32 v5, v14, v6
	v_add_f32_e32 v5, v5, v7
	v_pk_add_f32 v[6:7], v[2:3], v[4:5] neg_lo:[0,1] neg_hi:[0,1]
	v_pk_add_f32 v[8:9], v[2:3], v[4:5]
	v_mov_b32_e32 v12, v6
	v_mov_b32_e32 v13, v9
	;; [unrolled: 1-line block ×3, first 2 shown]
	v_pk_add_f32 v[12:13], v[10:11], v[12:13]
	v_mov_b32_e32 v4, v13
	v_pk_add_f32 v[14:15], v[4:5], v[2:3] neg_lo:[0,1] neg_hi:[0,1]
	v_mov_b32_e32 v15, v14
	v_mov_b32_e32 v12, v9
	;; [unrolled: 1-line block ×4, first 2 shown]
	v_pk_add_f32 v[6:7], v[10:11], v[6:7] neg_lo:[0,1] neg_hi:[0,1]
	v_pk_add_f32 v[18:19], v[8:9], v[14:15] neg_lo:[0,1] neg_hi:[0,1]
	;; [unrolled: 1-line block ×3, first 2 shown]
	v_mov_b32_e32 v10, v5
	v_pk_add_f32 v[2:3], v[10:11], v[2:3] neg_lo:[0,1] neg_hi:[0,1]
	v_mov_b32_e32 v18, v6
	v_pk_add_f32 v[8:9], v[18:19], v[2:3]
	v_mov_b32_e32 v10, v9
	v_pk_add_f32 v[10:11], v[8:9], v[10:11]
	v_pk_add_f32 v[4:5], v[4:5], v[10:11]
	v_mov_b32_e32 v7, v13
	v_mov_b32_e32 v9, v4
	v_pk_add_f32 v[12:13], v[8:9], v[6:7] neg_lo:[0,1] neg_hi:[0,1]
	v_mov_b32_e32 v3, v10
	v_sub_f32_e32 v5, v8, v12
	v_pk_add_f32 v[2:3], v[2:3], v[12:13] neg_lo:[0,1] neg_hi:[0,1]
	v_sub_f32_e32 v5, v6, v5
	v_add_f32_e32 v2, v2, v5
	v_add_f32_e32 v2, v2, v3
	;; [unrolled: 1-line block ×3, first 2 shown]
	v_sub_f32_e32 v4, v3, v4
	v_sub_f32_e32 v2, v2, v4
	v_mul_f32_e32 v4, v17, v3
	v_fma_f32 v3, v17, v3, -v4
	v_fmac_f32_e32 v3, v17, v2
	v_add_f32_e32 v2, v4, v3
	v_cmp_class_f32_e64 s[0:1], v4, s12
	v_sub_f32_e32 v5, v2, v4
	v_cndmask_b32_e64 v2, v2, v4, s[0:1]
	v_cmp_eq_f32_e64 s[0:1], s13, v2
	v_cndmask_b32_e64 v4, 0, v25, s[0:1]
	v_sub_f32_e32 v3, v3, v5
	v_sub_f32_e32 v5, v2, v4
	v_mul_f32_e32 v6, 0x3fb8aa3b, v5
	v_fma_f32 v7, v5, s24, -v6
	v_rndne_f32_e32 v8, v6
	v_fmac_f32_e32 v7, 0x32a5705f, v5
	v_sub_f32_e32 v6, v6, v8
	v_add_f32_e32 v6, v6, v7
	v_exp_f32_e32 v6, v6
	v_cvt_i32_f32_e32 v7, v8
	v_cmp_neq_f32_e64 s[0:1], |v2|, s11
	v_cndmask_b32_e64 v2, 0, v3, s[0:1]
	v_cmp_ngt_f32_e64 s[0:1], s25, v5
	v_ldexp_f32 v3, v6, v7
	v_cndmask_b32_e64 v3, 0, v3, s[0:1]
	v_cmp_nlt_f32_e64 s[0:1], s13, v5
	v_add_f32_e32 v2, v4, v2
	v_cndmask_b32_e64 v3, v26, v3, s[0:1]
	v_fma_f32 v2, v3, v2, v3
	v_cmp_class_f32_e64 s[0:1], v3, s12
	v_trunc_f32_e32 v4, v17
	v_cndmask_b32_e64 v2, v2, v3, s[0:1]
	v_cndmask_b32_e64 v3, v22, 1.0, vcc
	v_cmp_eq_f32_e32 vcc, v4, v17
	v_mul_f32_e32 v4, 0.5, v17
	v_trunc_f32_e32 v5, v4
	v_cmp_neq_f32_e64 s[0:1], v5, v4
	s_and_b64 s[0:1], vcc, s[0:1]
	v_cndmask_b32_e64 v4, 1.0, v3, s[0:1]
	v_bfi_b32 v2, s26, v2, v4
	v_cmp_eq_f32_e64 s[2:3], 0, v3
	v_cmp_gt_f32_e64 s[6:7], 0, v17
	v_cndmask_b32_e32 v4, v20, v2, vcc
	v_cmp_gt_f32_e32 vcc, 0, v3
	s_xor_b64 s[6:7], s[6:7], s[2:3]
	v_cndmask_b32_e32 v2, v2, v4, vcc
	v_cmp_eq_f32_e32 vcc, s11, v27
	v_cndmask_b32_e64 v4, v26, 0, s[6:7]
	v_cndmask_b32_e64 v5, 0, v3, s[0:1]
	v_bfi_b32 v4, s26, v4, v5
	s_or_b64 vcc, vcc, s[2:3]
	v_cndmask_b32_e32 v2, v2, v4, vcc
	v_sub_f32_e32 v2, 1.0, v2
	v_cmp_o_f32_e32 vcc, v3, v3
	v_cndmask_b32_e32 v2, v20, v2, vcc
	s_mov_b32 s33, 0xf800000
	v_mul_f32_e32 v3, 0x4f800000, v2
	v_cmp_gt_f32_e32 vcc, s33, v2
	v_cndmask_b32_e32 v2, v2, v3, vcc
	v_sqrt_f32_e32 v3, v2
	v_sub_f32_e32 v4, 1.0, v21
	v_cmp_o_f32_e64 s[0:1], v1, v1
	v_cndmask_b32_e64 v1, v20, v4, s[0:1]
	v_add_u32_e32 v4, -1, v3
	v_fma_f32 v5, -v4, v3, v2
	v_cmp_ge_f32_e64 s[0:1], 0, v5
	v_add_u32_e32 v5, 1, v3
	v_cndmask_b32_e64 v4, v3, v4, s[0:1]
	v_fma_f32 v3, -v5, v3, v2
	v_cmp_lt_f32_e64 s[0:1], 0, v3
	v_cndmask_b32_e64 v3, v4, v5, s[0:1]
	v_mul_f32_e32 v4, 0x37800000, v3
	v_mov_b32_e32 v17, 0x260
	v_cndmask_b32_e32 v3, v3, v4, vcc
	v_cmp_class_f32_e32 vcc, v2, v17
	v_cndmask_b32_e32 v2, v3, v2, vcc
	v_mul_f32_e64 v3, v2, -s18
	v_div_scale_f32 v4, s[0:1], v1, v1, v3
	v_rcp_f32_e32 v5, v4
	s_load_dwordx4 s[24:27], s[4:5], 0x78
	s_mov_b32 s29, 0
	s_waitcnt lgkmcnt(0)
	s_movk_i32 s27, 0xfc
	v_fma_f32 v6, -v4, v5, 1.0
	v_fmac_f32_e32 v5, v6, v5
	v_div_scale_f32 v6, vcc, v3, v1, v3
	v_mul_f32_e32 v7, v6, v5
	v_fma_f32 v8, -v4, v7, v6
	v_fmac_f32_e32 v7, v8, v5
	v_fma_f32 v4, -v4, v7, v6
	v_div_scale_f32 v6, s[0:1], s10, s10, 1.0
	v_rcp_f32_e32 v8, v6
	v_div_fmas_f32 v4, v4, v5, v7
	v_div_fixup_f32 v1, v4, v1, v3
	v_sub_f32_e64 v42, 1.0, s14
	v_fma_f32 v3, -v6, v8, 1.0
	v_fmac_f32_e32 v8, v3, v8
	v_div_scale_f32 v3, vcc, 1.0, s10, 1.0
	v_mul_f32_e32 v4, v3, v8
	v_fma_f32 v5, -v6, v4, v3
	v_fmac_f32_e32 v4, v5, v8
	v_div_scale_f32 v5, s[0:1], s9, s9, 1.0
	v_fma_f32 v3, -v6, v4, v3
	v_rcp_f32_e32 v6, v5
	v_div_fmas_f32 v3, v3, v8, v4
	v_div_fixup_f32 v18, v3, s10, 1.0
	v_sub_f32_e64 v43, 1.0, s15
	v_fma_f32 v3, -v5, v6, 1.0
	v_fmac_f32_e32 v6, v3, v6
	v_div_scale_f32 v3, vcc, 1.0, s9, 1.0
	v_mul_f32_e32 v4, v3, v6
	v_fma_f32 v7, -v5, v4, v3
	v_fmac_f32_e32 v4, v7, v6
	v_fma_f32 v3, -v5, v4, v3
	v_div_fmas_f32 v3, v3, v6, v4
	v_div_fixup_f32 v19, v3, s9, 1.0
	v_mbcnt_lo_u32_b32 v3, -1, 0
	v_mbcnt_hi_u32_b32 v3, -1, v3
	v_lshlrev_b32_e32 v4, 2, v0
	v_lshlrev_b32_e32 v6, 1, v3
	v_and_b32_e32 v5, 0xf00, v4
	v_mov_b32_e32 v7, s39
	v_add_co_u32_e32 v8, vcc, s38, v6
	v_addc_co_u32_e32 v7, vcc, 0, v7, vcc
	v_lshlrev_b32_e32 v9, 1, v5
	v_add_co_u32_e32 v20, vcc, v8, v9
	v_or_b32_e32 v22, v3, v5
	v_addc_co_u32_e32 v21, vcc, 0, v7, vcc
	v_lshrrev_b32_e32 v7, 5, v22
	v_add_u32_e32 v23, 64, v22
	v_and_b32_e32 v8, 0x7a, v7
	v_add_lshl_u32 v26, v8, v22, 1
	v_lshrrev_b32_e32 v8, 5, v23
	v_or_b32_e32 v24, 0x80, v22
	v_and_b32_e32 v10, 0x7e, v8
	v_add_lshl_u32 v27, v10, v23, 1
	v_lshrrev_b32_e32 v10, 5, v24
	v_add_u32_e32 v25, 0xc0, v22
	v_and_b32_e32 v11, 0x7e, v10
	v_add_lshl_u32 v28, v11, v24, 1
	v_lshrrev_b32_e32 v11, 5, v25
	v_and_b32_e32 v0, 0x3c0, v0
	v_and_b32_e32 v12, 0xfe, v11
	v_add_u32_e32 v0, v3, v0
	v_add_lshl_u32 v29, v12, v25, 1
	v_lshlrev_b32_e32 v12, 2, v0
	v_bfe_u32 v0, v0, 3, 27
	v_and_b32_e32 v13, 0xfe, v0
	v_add_lshl_u32 v30, v13, v12, 1
	v_mov_b32_e32 v13, s41
	v_add_co_u32_e32 v14, vcc, s40, v3
	v_addc_co_u32_e32 v13, vcc, 0, v13, vcc
	v_add_co_u32_e32 v31, vcc, v14, v5
	v_addc_co_u32_e32 v32, vcc, 0, v13, vcc
	v_and_b32_e32 v0, 0xfc, v0
	v_add_u32_e32 v37, v0, v12
	v_mov_b32_e32 v0, s43
	v_add_co_u32_e32 v3, vcc, s42, v3
	v_addc_co_u32_e32 v0, vcc, 0, v0, vcc
	v_add_co_u32_e32 v38, vcc, v3, v5
	v_addc_co_u32_e32 v39, vcc, 0, v0, vcc
	v_and_b32_e32 v7, 0x78, v7
	v_mov_b32_e32 v0, s37
	v_add_co_u32_e32 v3, vcc, s36, v6
	v_add_u32_e32 v33, v7, v22
	v_and_b32_e32 v7, 0x7c, v8
	v_addc_co_u32_e32 v0, vcc, 0, v0, vcc
	v_add_u32_e32 v34, v7, v23
	v_and_b32_e32 v7, 0x7c, v10
	v_add_co_u32_e32 v40, vcc, v3, v9
	v_add_u32_e32 v35, v7, v24
	v_and_b32_e32 v7, 0xfc, v11
	v_addc_co_u32_e32 v41, vcc, 0, v0, vcc
	v_mov_b32_e32 v0, s24
	v_add_u32_e32 v36, v7, v25
	v_mul_f32_e32 v44, v1, v16
	v_mul_f32_e32 v45, s16, v2
	v_cmp_gt_f32_e64 s[0:1], s24, 0
	v_fma_f32 v46, -s18, v0, 1.0
	s_lshl_b32 s24, s8, 12
	s_sub_i32 s34, s26, s28
	v_add_u32_e32 v47, 4, v4
	s_movk_i32 s35, 0xff
	v_mov_b32_e32 v48, 0
	s_mov_b32 s36, 0x3020104
	s_mov_b32 s37, 0x7060004
	s_movk_i32 s38, 0xff00
	s_mov_b32 s39, 0xffff0000
	s_movk_i32 s40, 0x100
	s_mov_b32 s41, 0x7000504
	s_mov_b32 s42, 0x60504
	s_movk_i32 s43, 0x2000
	v_mov_b32_e32 v49, 2
	v_mov_b32_e32 v50, 0x7f
	v_mov_b32_e32 v51, 0xbf
	v_not_b32_e32 v52, 31
	v_mov_b32_e32 v53, 0xff
                                        ; implicit-def: $vgpr54
                                        ; implicit-def: $vgpr1
                                        ; implicit-def: $vgpr55
	s_branch .LBB92_12
.LBB92_10:                              ;   in Loop: Header=BB92_12 Depth=1
	s_or_b64 exec, exec, s[2:3]
	s_waitcnt lgkmcnt(0)
	s_barrier
.LBB92_11:                              ;   in Loop: Header=BB92_12 Depth=1
	s_or_b64 exec, exec, s[16:17]
	s_add_i32 s28, s28, s24
	s_sub_i32 s34, s34, s24
	s_cmp_ge_u32 s28, s31
	s_cbranch_scc1 .LBB92_173
.LBB92_12:                              ; =>This Inner Loop Header: Depth=1
	s_lshl_b64 s[10:11], s[28:29], 1
	s_min_u32 s12, s34, 0x1000
	v_mov_b32_e32 v3, s11
	v_add_co_u32_e32 v2, vcc, s10, v20
	v_addc_co_u32_e32 v3, vcc, v21, v3, vcc
	v_cmp_gt_u32_e64 s[2:3], s12, v22
	v_mov_b32_e32 v4, 0
	s_and_saveexec_b64 s[4:5], s[2:3]
	s_cbranch_execz .LBB92_14
; %bb.13:                               ;   in Loop: Header=BB92_12 Depth=1
	global_load_ushort v4, v[2:3], off
.LBB92_14:                              ;   in Loop: Header=BB92_12 Depth=1
	s_or_b64 exec, exec, s[4:5]
	v_cmp_gt_u32_e64 s[4:5], s12, v23
	v_mov_b32_e32 v5, 0
	v_mov_b32_e32 v6, 0
	s_and_saveexec_b64 s[6:7], s[4:5]
	s_cbranch_execz .LBB92_16
; %bb.15:                               ;   in Loop: Header=BB92_12 Depth=1
	global_load_ushort v6, v[2:3], off offset:128
.LBB92_16:                              ;   in Loop: Header=BB92_12 Depth=1
	s_or_b64 exec, exec, s[6:7]
	v_cmp_gt_u32_e64 s[6:7], s12, v24
	s_and_saveexec_b64 s[8:9], s[6:7]
	s_cbranch_execz .LBB92_18
; %bb.17:                               ;   in Loop: Header=BB92_12 Depth=1
	global_load_ushort v5, v[2:3], off offset:256
.LBB92_18:                              ;   in Loop: Header=BB92_12 Depth=1
	s_or_b64 exec, exec, s[8:9]
	v_cmp_gt_u32_e64 s[8:9], s12, v25
	v_mov_b32_e32 v7, 0
	s_and_saveexec_b64 s[12:13], s[8:9]
	s_cbranch_execz .LBB92_20
; %bb.19:                               ;   in Loop: Header=BB92_12 Depth=1
	global_load_ushort v7, v[2:3], off offset:384
.LBB92_20:                              ;   in Loop: Header=BB92_12 Depth=1
	s_or_b64 exec, exec, s[12:13]
	s_waitcnt vmcnt(0)
	ds_write_b16 v26, v4
	ds_write_b16 v27, v6
	;; [unrolled: 1-line block ×4, first 2 shown]
	; wave barrier
	ds_read_b64 v[12:13], v30
	v_mov_b32_e32 v3, s29
	v_add_co_u32_e32 v2, vcc, s28, v31
	v_addc_co_u32_e32 v3, vcc, v32, v3, vcc
	v_mov_b32_e32 v4, 0x80
	v_mov_b32_e32 v5, 0x80
	;; [unrolled: 1-line block ×3, first 2 shown]
	s_waitcnt lgkmcnt(0)
	s_barrier
	s_and_saveexec_b64 s[12:13], s[2:3]
	s_cbranch_execnz .LBB92_154
; %bb.21:                               ;   in Loop: Header=BB92_12 Depth=1
	s_or_b64 exec, exec, s[12:13]
	v_mov_b32_e32 v7, v4
	s_and_saveexec_b64 s[12:13], s[4:5]
	s_cbranch_execnz .LBB92_155
.LBB92_22:                              ;   in Loop: Header=BB92_12 Depth=1
	s_or_b64 exec, exec, s[12:13]
	s_and_saveexec_b64 s[12:13], s[6:7]
	s_cbranch_execnz .LBB92_156
.LBB92_23:                              ;   in Loop: Header=BB92_12 Depth=1
	s_or_b64 exec, exec, s[12:13]
	s_and_saveexec_b64 s[12:13], s[8:9]
	s_cbranch_execz .LBB92_25
.LBB92_24:                              ;   in Loop: Header=BB92_12 Depth=1
	global_load_ubyte v6, v[2:3], off offset:192
.LBB92_25:                              ;   in Loop: Header=BB92_12 Depth=1
	s_or_b64 exec, exec, s[12:13]
	s_waitcnt vmcnt(0)
	ds_write_b8 v33, v5
	ds_write_b8 v34, v7
	;; [unrolled: 1-line block ×4, first 2 shown]
	; wave barrier
	ds_read_u8 v8, v37
	ds_read_u8 v64, v37 offset:1
	ds_read_u8 v58, v37 offset:2
	;; [unrolled: 1-line block ×3, first 2 shown]
	v_mov_b32_e32 v5, s29
	v_add_co_u32_e32 v4, vcc, s28, v38
	v_addc_co_u32_e32 v5, vcc, v39, v5, vcc
	v_mov_b32_e32 v6, 0
	v_mov_b32_e32 v7, 0
	s_waitcnt lgkmcnt(0)
	s_barrier
	s_and_saveexec_b64 s[12:13], s[2:3]
	s_cbranch_execnz .LBB92_157
; %bb.26:                               ;   in Loop: Header=BB92_12 Depth=1
	s_or_b64 exec, exec, s[12:13]
	s_and_saveexec_b64 s[12:13], s[4:5]
	s_cbranch_execnz .LBB92_158
.LBB92_27:                              ;   in Loop: Header=BB92_12 Depth=1
	s_or_b64 exec, exec, s[12:13]
	s_and_saveexec_b64 s[12:13], s[6:7]
	s_cbranch_execnz .LBB92_159
.LBB92_28:                              ;   in Loop: Header=BB92_12 Depth=1
	s_or_b64 exec, exec, s[12:13]
	s_and_saveexec_b64 s[12:13], s[8:9]
	s_cbranch_execz .LBB92_30
.LBB92_29:                              ;   in Loop: Header=BB92_12 Depth=1
	global_load_ubyte v9, v[4:5], off offset:192
	s_waitcnt vmcnt(0)
	v_lshlrev_b16_e32 v9, 8, v9
	v_or_b32_sdwa v9, v6, v9 dst_sel:WORD_1 dst_unused:UNUSED_PAD src0_sel:WORD_1 src1_sel:DWORD
	v_and_or_b32 v6, v6, s30, v9
.LBB92_30:                              ;   in Loop: Header=BB92_12 Depth=1
	s_or_b64 exec, exec, s[12:13]
	ds_write_b8 v33, v7
	v_lshrrev_b32_e32 v7, 8, v6
	ds_write_b8 v34, v7
	ds_write_b8_d16_hi v35, v6
	v_lshrrev_b32_e32 v6, 24, v6
	ds_write_b8 v36, v6
	; wave barrier
	ds_read_u8 v65, v37
	ds_read_u8 v63, v37 offset:1
	ds_read_u8 v62, v37 offset:2
	;; [unrolled: 1-line block ×3, first 2 shown]
	v_mov_b32_e32 v7, s11
	v_add_co_u32_e32 v6, vcc, s10, v40
	v_addc_co_u32_e32 v7, vcc, v41, v7, vcc
	s_waitcnt lgkmcnt(0)
	s_barrier
	s_and_saveexec_b64 s[10:11], s[2:3]
	s_cbranch_execnz .LBB92_160
; %bb.31:                               ;   in Loop: Header=BB92_12 Depth=1
	s_or_b64 exec, exec, s[10:11]
	s_and_saveexec_b64 s[10:11], s[4:5]
	s_cbranch_execnz .LBB92_161
.LBB92_32:                              ;   in Loop: Header=BB92_12 Depth=1
	s_or_b64 exec, exec, s[10:11]
	s_and_saveexec_b64 s[10:11], s[6:7]
	s_cbranch_execnz .LBB92_162
.LBB92_33:                              ;   in Loop: Header=BB92_12 Depth=1
	s_or_b64 exec, exec, s[10:11]
	s_and_saveexec_b64 s[10:11], s[8:9]
	s_cbranch_execz .LBB92_35
.LBB92_34:                              ;   in Loop: Header=BB92_12 Depth=1
	global_load_ushort v54, v[6:7], off offset:384
.LBB92_35:                              ;   in Loop: Header=BB92_12 Depth=1
	s_or_b64 exec, exec, s[10:11]
	s_waitcnt vmcnt(0)
	ds_write_b16 v26, v0
	ds_write_b16 v27, v55
	;; [unrolled: 1-line block ×4, first 2 shown]
	; wave barrier
	ds_read_b64 v[0:1], v30
	v_add_u32_e32 v9, s28, v47
	v_cmp_ge_u32_e32 vcc, s26, v9
	s_waitcnt lgkmcnt(0)
	v_lshrrev_b32_e32 v55, 16, v0
	v_lshrrev_b32_e32 v54, 16, v1
	s_and_saveexec_b64 s[16:17], vcc
	s_cbranch_execz .LBB92_11
; %bb.36:                               ;   in Loop: Header=BB92_12 Depth=1
	global_load_dword v61, v48, s[20:21]
	global_load_dword v59, v48, s[22:23]
	v_lshlrev_b32_sdwa v8, v49, v8 dst_sel:DWORD dst_unused:UNUSED_PAD src0_sel:DWORD src1_sel:BYTE_0
	ds_read_b32 v11, v8 offset:8448
	v_cvt_f32_f16_e32 v10, v12
	v_add_u32_e64 v14, s43, 0
	ds_read2_b32 v[14:15], v14 offset0:64 offset1:191
	v_mov_b32_e32 v8, 0x24fc
	v_mul_f32_e32 v66, s25, v10
	ds_read2_b32 v[8:9], v8 offset1:1
	v_mov_b32_e32 v70, -16
	s_waitcnt vmcnt(1) lgkmcnt(2)
	v_mul_f32_e32 v10, v11, v61
	v_mul_f32_e32 v56, s14, v10
	v_fmac_f32_e32 v56, v42, v66
	v_mul_f32_e32 v67, v18, v56
	s_waitcnt lgkmcnt(1)
	v_cmp_lt_f32_e32 vcc, v15, v67
	v_cndmask_b32_e32 v71, 63, v51, vcc
	v_lshlrev_b32_e32 v68, 2, v71
	ds_read_b32 v75, v68 offset:8448
	v_or_b32_e32 v68, 0x2100, v68
	v_add_u32_e64 v10, s27, 0
	ds_read2st64_b32 v[10:11], v10 offset0:38 offset1:40
	v_cndmask_b32_e32 v69, 0, v50, vcc
	s_waitcnt lgkmcnt(1)
	v_cmp_lt_f32_e64 s[10:11], v75, v67
	v_cndmask_b32_e64 v76, v52, 32, s[10:11]
	v_lshl_add_u32 v73, v76, 2, v68
	ds_read_b32 v68, v73
	v_cndmask_b32_e32 v74, -1.0, v15, vcc
	v_add_u32_e32 v76, v71, v76
	v_cndmask_b32_e64 v72, v69, v71, s[10:11]
	v_cndmask_b32_e64 v74, v74, v75, s[10:11]
	s_waitcnt lgkmcnt(0)
	v_cmp_lt_f32_e64 s[12:13], v68, v67
	v_mov_b32_e32 v69, v76
	s_and_saveexec_b64 s[18:19], s[12:13]
; %bb.37:                               ;   in Loop: Header=BB92_12 Depth=1
	v_cndmask_b32_e32 v69, v50, v53, vcc
	v_cndmask_b32_e64 v70, v15, 1.0, vcc
	v_cndmask_b32_e64 v69, v71, v69, s[10:11]
	v_cndmask_b32_e64 v71, v75, v70, s[10:11]
	v_mov_b32_e32 v70, 16
	v_mov_b32_e32 v72, v76
	;; [unrolled: 1-line block ×4, first 2 shown]
; %bb.38:                               ;   in Loop: Header=BB92_12 Depth=1
	s_or_b64 exec, exec, s[18:19]
	v_lshl_add_u32 v71, v70, 2, v73
	ds_read_b32 v77, v71
	v_add_u32_e32 v78, v70, v76
	v_mov_b32_e32 v76, -4
	s_waitcnt lgkmcnt(0)
	v_cmp_lt_f32_e32 vcc, v77, v67
	v_cndmask_b32_e64 v75, -8, 8, vcc
	v_lshl_add_u32 v73, v75, 2, v71
	ds_read_b32 v71, v73
	v_add_u32_e32 v75, v75, v78
	v_cndmask_b32_e32 v70, v72, v78, vcc
	v_cndmask_b32_e32 v74, v74, v77, vcc
	v_mov_b32_e32 v72, v75
	s_waitcnt lgkmcnt(0)
	v_cmp_lt_f32_e64 s[10:11], v71, v67
	s_and_saveexec_b64 s[12:13], s[10:11]
; %bb.39:                               ;   in Loop: Header=BB92_12 Depth=1
	v_cndmask_b32_e32 v68, v77, v68, vcc
	v_cndmask_b32_e32 v72, v78, v69, vcc
	v_mov_b32_e32 v76, 4
	v_mov_b32_e32 v70, v75
	v_mov_b32_e32 v74, v71
	v_mov_b32_e32 v71, v68
; %bb.40:                               ;   in Loop: Header=BB92_12 Depth=1
	s_or_b64 exec, exec, s[12:13]
	v_lshl_add_u32 v68, v76, 2, v73
	ds_read_b32 v77, v68
	v_add_u32_e32 v78, v76, v75
	v_mov_b32_e32 v76, -1
	s_waitcnt lgkmcnt(0)
	v_cmp_lt_f32_e32 vcc, v77, v67
	v_cndmask_b32_e64 v75, -2, 2, vcc
	v_lshl_add_u32 v68, v75, 2, v68
	ds_read_b32 v69, v68
	v_add_u32_e32 v75, v75, v78
	v_cndmask_b32_e32 v73, v70, v78, vcc
	v_cndmask_b32_e32 v74, v74, v77, vcc
	v_mov_b32_e32 v70, v75
	s_waitcnt lgkmcnt(0)
	v_cmp_lt_f32_e64 s[10:11], v69, v67
	s_and_saveexec_b64 s[12:13], s[10:11]
; %bb.41:                               ;   in Loop: Header=BB92_12 Depth=1
	v_cndmask_b32_e32 v71, v77, v71, vcc
	v_cndmask_b32_e32 v70, v78, v72, vcc
	v_mov_b32_e32 v76, 1
	v_mov_b32_e32 v73, v75
	;; [unrolled: 1-line block ×4, first 2 shown]
; %bb.42:                               ;   in Loop: Header=BB92_12 Depth=1
	s_or_b64 exec, exec, s[12:13]
	v_lshl_add_u32 v68, v76, 2, v68
	ds_read_b32 v72, v68
	v_add_u32_e32 v71, v76, v75
                                        ; implicit-def: $vgpr68
	s_waitcnt lgkmcnt(0)
	v_cmp_nlt_f32_e32 vcc, v72, v67
	s_and_saveexec_b64 s[10:11], vcc
	s_xor_b64 s[10:11], exec, s[10:11]
; %bb.43:                               ;   in Loop: Header=BB92_12 Depth=1
	v_cmp_eq_u32_e32 vcc, 0, v73
	v_cndmask_b32_e32 v68, v74, v14, vcc
	v_add_f32_e32 v68, v72, v68
	v_mul_f32_e32 v68, 0.5, v68
	v_cmp_gt_f32_e32 vcc, v68, v67
	v_cndmask_b32_e32 v68, v71, v73, vcc
                                        ; implicit-def: $vgpr70
                                        ; implicit-def: $vgpr69
                                        ; implicit-def: $vgpr72
                                        ; implicit-def: $vgpr67
                                        ; implicit-def: $vgpr71
; %bb.44:                               ;   in Loop: Header=BB92_12 Depth=1
	s_andn2_saveexec_b64 s[10:11], s[10:11]
; %bb.45:                               ;   in Loop: Header=BB92_12 Depth=1
	v_cmp_eq_u32_e32 vcc, s35, v70
	v_cndmask_b32_e32 v68, v69, v8, vcc
	v_add_f32_e32 v68, v72, v68
	v_mul_f32_e32 v68, 0.5, v68
	v_cmp_lt_f32_e32 vcc, v68, v67
	v_cndmask_b32_e32 v68, v71, v70, vcc
; %bb.46:                               ;   in Loop: Header=BB92_12 Depth=1
	s_or_b64 exec, exec, s[10:11]
	v_lshlrev_b32_e32 v67, 2, v68
	ds_read_b32 v67, v67 offset:8448
	v_lshlrev_b16_e32 v64, 8, v64
	v_lshlrev_b16_e32 v60, 8, v60
	v_or_b32_sdwa v64, v68, v64 dst_sel:DWORD dst_unused:UNUSED_PAD src0_sel:BYTE_0 src1_sel:DWORD
	v_or_b32_sdwa v58, v58, v60 dst_sel:WORD_1 dst_unused:UNUSED_PAD src0_sel:BYTE_0 src1_sel:DWORD
	v_or_b32_sdwa v64, v64, v58 dst_sel:DWORD dst_unused:UNUSED_PAD src0_sel:WORD_0 src1_sel:DWORD
	s_waitcnt lgkmcnt(0)
	v_xor_b32_e32 v58, v67, v56
	v_cmp_gt_i32_e32 vcc, 0, v58
	s_and_saveexec_b64 s[10:11], vcc
	s_cbranch_execz .LBB92_52
; %bb.47:                               ;   in Loop: Header=BB92_12 Depth=1
	v_cmp_nlt_f32_e32 vcc, 0, v56
	s_and_saveexec_b64 s[12:13], vcc
	s_xor_b64 s[12:13], exec, s[12:13]
; %bb.48:                               ;   in Loop: Header=BB92_12 Depth=1
	v_add_u16_e32 v58, -1, v68
	v_perm_b32 v64, v58, v64, s36
                                        ; implicit-def: $vgpr68
; %bb.49:                               ;   in Loop: Header=BB92_12 Depth=1
	s_andn2_saveexec_b64 s[12:13], s[12:13]
; %bb.50:                               ;   in Loop: Header=BB92_12 Depth=1
	v_add_u16_e32 v58, 1, v68
	v_perm_b32 v64, v58, v64, s36
; %bb.51:                               ;   in Loop: Header=BB92_12 Depth=1
	s_or_b64 exec, exec, s[12:13]
.LBB92_52:                              ;   in Loop: Header=BB92_12 Depth=1
	s_or_b64 exec, exec, s[10:11]
	v_lshlrev_b32_sdwa v58, v49, v65 dst_sel:DWORD dst_unused:UNUSED_PAD src0_sel:DWORD src1_sel:BYTE_0
	ds_read_b32 v58, v58 offset:9472
	v_mul_f32_e32 v65, v43, v66
	v_mov_b32_e32 v67, -16
	s_waitcnt vmcnt(0) lgkmcnt(0)
	v_mul_f32_e32 v58, v58, v59
	v_mul_f32_e32 v60, s15, v58
	v_fmac_f32_e32 v60, v66, v65
	v_mul_f32_e32 v65, v19, v60
	v_cmp_lt_f32_e32 vcc, v10, v65
	v_cndmask_b32_e32 v71, 63, v51, vcc
	v_lshlrev_b32_e32 v58, 2, v71
	ds_read_b32 v72, v58 offset:9472
	v_or_b32_e32 v58, 0x2500, v58
	v_cndmask_b32_e32 v66, 0, v50, vcc
	v_cndmask_b32_e32 v70, -1.0, v10, vcc
	s_waitcnt lgkmcnt(0)
	v_cmp_lt_f32_e64 s[10:11], v72, v65
	v_cndmask_b32_e64 v73, v52, 32, s[10:11]
	v_lshl_add_u32 v68, v73, 2, v58
	ds_read_b32 v58, v68
	v_add_u32_e32 v73, v71, v73
	v_cndmask_b32_e64 v69, v66, v71, s[10:11]
	v_cndmask_b32_e64 v70, v70, v72, s[10:11]
	v_mov_b32_e32 v66, v73
	s_waitcnt lgkmcnt(0)
	v_cmp_lt_f32_e64 s[12:13], v58, v65
	s_and_saveexec_b64 s[18:19], s[12:13]
; %bb.53:                               ;   in Loop: Header=BB92_12 Depth=1
	v_cndmask_b32_e32 v66, v50, v53, vcc
	v_cndmask_b32_e64 v67, v10, 1.0, vcc
	v_cndmask_b32_e64 v66, v71, v66, s[10:11]
	v_cndmask_b32_e64 v71, v72, v67, s[10:11]
	v_mov_b32_e32 v67, 16
	v_mov_b32_e32 v69, v73
	;; [unrolled: 1-line block ×4, first 2 shown]
; %bb.54:                               ;   in Loop: Header=BB92_12 Depth=1
	s_or_b64 exec, exec, s[18:19]
	v_lshl_add_u32 v68, v67, 2, v68
	ds_read_b32 v74, v68
	v_add_u32_e32 v75, v67, v73
	v_mov_b32_e32 v73, -4
	s_waitcnt lgkmcnt(0)
	v_cmp_lt_f32_e32 vcc, v74, v65
	v_cndmask_b32_e64 v76, -8, 8, vcc
	v_lshl_add_u32 v72, v76, 2, v68
	ds_read_b32 v68, v72
	v_cndmask_b32_e32 v71, v70, v74, vcc
	v_add_u32_e32 v70, v76, v75
	v_cndmask_b32_e32 v67, v69, v75, vcc
	v_mov_b32_e32 v69, v70
	s_waitcnt lgkmcnt(0)
	v_cmp_lt_f32_e64 s[10:11], v68, v65
	s_and_saveexec_b64 s[12:13], s[10:11]
; %bb.55:                               ;   in Loop: Header=BB92_12 Depth=1
	v_cndmask_b32_e32 v58, v74, v58, vcc
	v_cndmask_b32_e32 v69, v75, v66, vcc
	v_mov_b32_e32 v73, 4
	v_mov_b32_e32 v67, v70
	v_mov_b32_e32 v71, v68
	v_mov_b32_e32 v68, v58
; %bb.56:                               ;   in Loop: Header=BB92_12 Depth=1
	s_or_b64 exec, exec, s[12:13]
	v_lshl_add_u32 v58, v73, 2, v72
	ds_read_b32 v74, v58
	v_add_u32_e32 v75, v73, v70
	v_mov_b32_e32 v73, -1
	s_waitcnt lgkmcnt(0)
	v_cmp_lt_f32_e32 vcc, v74, v65
	v_cndmask_b32_e64 v72, -2, 2, vcc
	v_lshl_add_u32 v58, v72, 2, v58
	ds_read_b32 v66, v58
	v_add_u32_e32 v72, v72, v75
	v_cndmask_b32_e32 v70, v67, v75, vcc
	v_cndmask_b32_e32 v71, v71, v74, vcc
	v_mov_b32_e32 v67, v72
	s_waitcnt lgkmcnt(0)
	v_cmp_lt_f32_e64 s[10:11], v66, v65
	s_and_saveexec_b64 s[12:13], s[10:11]
; %bb.57:                               ;   in Loop: Header=BB92_12 Depth=1
	v_cndmask_b32_e32 v68, v74, v68, vcc
	v_cndmask_b32_e32 v67, v75, v69, vcc
	v_mov_b32_e32 v73, 1
	v_mov_b32_e32 v70, v72
	;; [unrolled: 1-line block ×4, first 2 shown]
; %bb.58:                               ;   in Loop: Header=BB92_12 Depth=1
	s_or_b64 exec, exec, s[12:13]
	v_lshl_add_u32 v58, v73, 2, v58
	ds_read_b32 v69, v58
	v_add_u32_e32 v68, v73, v72
                                        ; implicit-def: $vgpr58
	s_waitcnt lgkmcnt(0)
	v_cmp_nlt_f32_e32 vcc, v69, v65
	s_and_saveexec_b64 s[10:11], vcc
	s_xor_b64 s[10:11], exec, s[10:11]
; %bb.59:                               ;   in Loop: Header=BB92_12 Depth=1
	v_cmp_eq_u32_e32 vcc, 0, v70
	v_cndmask_b32_e32 v58, v71, v9, vcc
	v_add_f32_e32 v58, v69, v58
	v_mul_f32_e32 v58, 0.5, v58
	v_cmp_gt_f32_e32 vcc, v58, v65
	v_cndmask_b32_e32 v58, v68, v70, vcc
                                        ; implicit-def: $vgpr67
                                        ; implicit-def: $vgpr66
                                        ; implicit-def: $vgpr69
                                        ; implicit-def: $vgpr65
                                        ; implicit-def: $vgpr68
; %bb.60:                               ;   in Loop: Header=BB92_12 Depth=1
	s_andn2_saveexec_b64 s[10:11], s[10:11]
; %bb.61:                               ;   in Loop: Header=BB92_12 Depth=1
	v_cmp_eq_u32_e32 vcc, s35, v67
	v_cndmask_b32_e32 v58, v66, v11, vcc
	v_add_f32_e32 v58, v69, v58
	v_mul_f32_e32 v58, 0.5, v58
	v_cmp_lt_f32_e32 vcc, v58, v65
	v_cndmask_b32_e32 v58, v68, v67, vcc
; %bb.62:                               ;   in Loop: Header=BB92_12 Depth=1
	s_or_b64 exec, exec, s[10:11]
	v_lshlrev_b32_sdwa v65, v49, v64 dst_sel:DWORD dst_unused:UNUSED_PAD src0_sel:DWORD src1_sel:BYTE_1
	ds_read_b32 v66, v65 offset:8448
	v_cvt_f32_f16_sdwa v12, v12 dst_sel:DWORD dst_unused:UNUSED_PAD src0_sel:WORD_1
	v_mov_b32_e32 v69, -16
	v_mul_f32_e32 v65, s25, v12
	s_waitcnt lgkmcnt(0)
	v_mul_f32_e32 v12, v66, v61
	v_mul_f32_e32 v12, s14, v12
	v_fmac_f32_e32 v12, v42, v65
	v_mul_f32_e32 v66, v18, v12
	v_cmp_lt_f32_e32 vcc, v15, v66
	v_cndmask_b32_e32 v73, 63, v51, vcc
	v_lshlrev_b32_e32 v67, 2, v73
	ds_read_b32 v74, v67 offset:8448
	v_or_b32_e32 v67, 0x2100, v67
	v_cndmask_b32_e32 v68, 0, v50, vcc
	v_cndmask_b32_e32 v72, -1.0, v15, vcc
	s_waitcnt lgkmcnt(0)
	v_cmp_lt_f32_e64 s[10:11], v74, v66
	v_cndmask_b32_e64 v75, v52, 32, s[10:11]
	v_lshl_add_u32 v71, v75, 2, v67
	ds_read_b32 v67, v71
	v_add_u32_e32 v75, v73, v75
	v_cndmask_b32_e64 v70, v68, v73, s[10:11]
	v_cndmask_b32_e64 v72, v72, v74, s[10:11]
	v_mov_b32_e32 v68, v75
	s_waitcnt lgkmcnt(0)
	v_cmp_lt_f32_e64 s[12:13], v67, v66
	s_and_saveexec_b64 s[18:19], s[12:13]
; %bb.63:                               ;   in Loop: Header=BB92_12 Depth=1
	v_cndmask_b32_e32 v68, v50, v53, vcc
	v_cndmask_b32_e64 v69, v15, 1.0, vcc
	v_cndmask_b32_e64 v68, v73, v68, s[10:11]
	v_cndmask_b32_e64 v73, v74, v69, s[10:11]
	v_mov_b32_e32 v69, 16
	v_mov_b32_e32 v70, v75
	;; [unrolled: 1-line block ×4, first 2 shown]
; %bb.64:                               ;   in Loop: Header=BB92_12 Depth=1
	s_or_b64 exec, exec, s[18:19]
	v_lshl_add_u32 v71, v69, 2, v71
	ds_read_b32 v76, v71
	v_add_u32_e32 v77, v69, v75
	v_mov_b32_e32 v75, -4
	s_waitcnt lgkmcnt(0)
	v_cmp_lt_f32_e32 vcc, v76, v66
	v_cndmask_b32_e64 v74, -8, 8, vcc
	v_lshl_add_u32 v73, v74, 2, v71
	ds_read_b32 v69, v73
	v_add_u32_e32 v74, v74, v77
	v_cndmask_b32_e32 v71, v70, v77, vcc
	v_cndmask_b32_e32 v72, v72, v76, vcc
	v_mov_b32_e32 v70, v74
	s_waitcnt lgkmcnt(0)
	v_cmp_lt_f32_e64 s[10:11], v69, v66
	s_and_saveexec_b64 s[12:13], s[10:11]
; %bb.65:                               ;   in Loop: Header=BB92_12 Depth=1
	v_cndmask_b32_e32 v67, v76, v67, vcc
	v_cndmask_b32_e32 v70, v77, v68, vcc
	v_mov_b32_e32 v75, 4
	v_mov_b32_e32 v71, v74
	;; [unrolled: 1-line block ×4, first 2 shown]
; %bb.66:                               ;   in Loop: Header=BB92_12 Depth=1
	s_or_b64 exec, exec, s[12:13]
	v_lshl_add_u32 v67, v75, 2, v73
	ds_read_b32 v76, v67
	v_add_u32_e32 v77, v75, v74
	v_mov_b32_e32 v75, -1
	s_waitcnt lgkmcnt(0)
	v_cmp_lt_f32_e32 vcc, v76, v66
	v_cndmask_b32_e64 v68, -2, 2, vcc
	v_lshl_add_u32 v73, v68, 2, v67
	ds_read_b32 v67, v73
	v_add_u32_e32 v74, v68, v77
	v_cndmask_b32_e32 v71, v71, v77, vcc
	v_cndmask_b32_e32 v72, v72, v76, vcc
	v_mov_b32_e32 v68, v74
	s_waitcnt lgkmcnt(0)
	v_cmp_lt_f32_e64 s[10:11], v67, v66
	s_and_saveexec_b64 s[12:13], s[10:11]
; %bb.67:                               ;   in Loop: Header=BB92_12 Depth=1
	v_cndmask_b32_e32 v69, v76, v69, vcc
	v_cndmask_b32_e32 v68, v77, v70, vcc
	v_mov_b32_e32 v75, 1
	v_mov_b32_e32 v71, v74
	;; [unrolled: 1-line block ×4, first 2 shown]
; %bb.68:                               ;   in Loop: Header=BB92_12 Depth=1
	s_or_b64 exec, exec, s[12:13]
	v_lshl_add_u32 v69, v75, 2, v73
	ds_read_b32 v73, v69
	v_add_u32_e32 v70, v75, v74
                                        ; implicit-def: $vgpr69
	s_waitcnt lgkmcnt(0)
	v_cmp_nlt_f32_e32 vcc, v73, v66
	s_and_saveexec_b64 s[10:11], vcc
	s_xor_b64 s[10:11], exec, s[10:11]
; %bb.69:                               ;   in Loop: Header=BB92_12 Depth=1
	v_cmp_eq_u32_e32 vcc, 0, v71
	v_cndmask_b32_e32 v67, v72, v14, vcc
	v_add_f32_e32 v67, v73, v67
	v_mul_f32_e32 v67, 0.5, v67
	v_cmp_gt_f32_e32 vcc, v67, v66
	v_cndmask_b32_e32 v69, v70, v71, vcc
                                        ; implicit-def: $vgpr68
                                        ; implicit-def: $vgpr67
                                        ; implicit-def: $vgpr73
                                        ; implicit-def: $vgpr66
                                        ; implicit-def: $vgpr70
; %bb.70:                               ;   in Loop: Header=BB92_12 Depth=1
	s_andn2_saveexec_b64 s[10:11], s[10:11]
; %bb.71:                               ;   in Loop: Header=BB92_12 Depth=1
	v_cmp_eq_u32_e32 vcc, s35, v68
	v_cndmask_b32_e32 v67, v67, v8, vcc
	v_add_f32_e32 v67, v73, v67
	v_mul_f32_e32 v67, 0.5, v67
	v_cmp_lt_f32_e32 vcc, v67, v66
	v_cndmask_b32_e32 v69, v70, v68, vcc
; %bb.72:                               ;   in Loop: Header=BB92_12 Depth=1
	s_or_b64 exec, exec, s[10:11]
	v_lshlrev_b32_e32 v66, 2, v69
	ds_read_b32 v67, v66 offset:8448
	v_perm_b32 v66, v64, v69, s37
	s_waitcnt lgkmcnt(0)
	v_xor_b32_e32 v64, v67, v12
	v_cmp_gt_i32_e32 vcc, 0, v64
	s_and_saveexec_b64 s[10:11], vcc
	s_cbranch_execz .LBB92_78
; %bb.73:                               ;   in Loop: Header=BB92_12 Depth=1
	v_lshlrev_b16_e32 v64, 8, v69
	v_cmp_nlt_f32_e32 vcc, 0, v12
	v_or_b32_sdwa v64, v64, v66 dst_sel:DWORD dst_unused:UNUSED_PAD src0_sel:DWORD src1_sel:BYTE_0
	s_and_saveexec_b64 s[12:13], vcc
	s_xor_b64 s[12:13], exec, s[12:13]
; %bb.74:                               ;   in Loop: Header=BB92_12 Depth=1
	v_add_u16_e32 v64, 0xff00, v64
	v_and_or_b32 v66, v66, s39, v64
                                        ; implicit-def: $vgpr64
; %bb.75:                               ;   in Loop: Header=BB92_12 Depth=1
	s_andn2_saveexec_b64 s[12:13], s[12:13]
; %bb.76:                               ;   in Loop: Header=BB92_12 Depth=1
	v_add_u16_e32 v64, 0x100, v64
	v_and_or_b32 v66, v66, s39, v64
; %bb.77:                               ;   in Loop: Header=BB92_12 Depth=1
	s_or_b64 exec, exec, s[12:13]
.LBB92_78:                              ;   in Loop: Header=BB92_12 Depth=1
	s_or_b64 exec, exec, s[10:11]
	v_lshlrev_b32_sdwa v63, v49, v63 dst_sel:DWORD dst_unused:UNUSED_PAD src0_sel:DWORD src1_sel:BYTE_0
	ds_read_b32 v63, v63 offset:9472
	v_mul_f32_e32 v67, v43, v65
	v_mov_b32_e32 v68, -16
	s_waitcnt lgkmcnt(0)
	v_mul_f32_e32 v63, v63, v59
	v_mul_f32_e32 v64, s15, v63
	v_fmac_f32_e32 v64, v65, v67
	v_mul_f32_e32 v65, v19, v64
	v_cmp_lt_f32_e32 vcc, v10, v65
	v_cndmask_b32_e32 v72, 63, v51, vcc
	v_lshlrev_b32_e32 v63, 2, v72
	ds_read_b32 v73, v63 offset:9472
	v_or_b32_e32 v63, 0x2500, v63
	v_cndmask_b32_e32 v67, 0, v50, vcc
	v_cndmask_b32_e32 v71, -1.0, v10, vcc
	s_waitcnt lgkmcnt(0)
	v_cmp_lt_f32_e64 s[10:11], v73, v65
	v_cndmask_b32_e64 v74, v52, 32, s[10:11]
	v_lshl_add_u32 v69, v74, 2, v63
	ds_read_b32 v63, v69
	v_add_u32_e32 v74, v72, v74
	v_cndmask_b32_e64 v70, v67, v72, s[10:11]
	v_cndmask_b32_e64 v71, v71, v73, s[10:11]
	v_mov_b32_e32 v67, v74
	s_waitcnt lgkmcnt(0)
	v_cmp_lt_f32_e64 s[12:13], v63, v65
	s_and_saveexec_b64 s[18:19], s[12:13]
; %bb.79:                               ;   in Loop: Header=BB92_12 Depth=1
	v_cndmask_b32_e32 v67, v50, v53, vcc
	v_cndmask_b32_e64 v68, v10, 1.0, vcc
	v_cndmask_b32_e64 v67, v72, v67, s[10:11]
	v_cndmask_b32_e64 v72, v73, v68, s[10:11]
	v_mov_b32_e32 v68, 16
	v_mov_b32_e32 v70, v74
	;; [unrolled: 1-line block ×4, first 2 shown]
; %bb.80:                               ;   in Loop: Header=BB92_12 Depth=1
	s_or_b64 exec, exec, s[18:19]
	v_lshl_add_u32 v69, v68, 2, v69
	ds_read_b32 v75, v69
	v_add_u32_e32 v76, v68, v74
	v_mov_b32_e32 v74, -4
	s_waitcnt lgkmcnt(0)
	v_cmp_lt_f32_e32 vcc, v75, v65
	v_cndmask_b32_e64 v77, -8, 8, vcc
	v_lshl_add_u32 v73, v77, 2, v69
	ds_read_b32 v69, v73
	v_cndmask_b32_e32 v72, v71, v75, vcc
	v_add_u32_e32 v71, v77, v76
	v_cndmask_b32_e32 v68, v70, v76, vcc
	v_mov_b32_e32 v70, v71
	s_waitcnt lgkmcnt(0)
	v_cmp_lt_f32_e64 s[10:11], v69, v65
	s_and_saveexec_b64 s[12:13], s[10:11]
; %bb.81:                               ;   in Loop: Header=BB92_12 Depth=1
	v_cndmask_b32_e32 v63, v75, v63, vcc
	v_cndmask_b32_e32 v70, v76, v67, vcc
	v_mov_b32_e32 v74, 4
	v_mov_b32_e32 v68, v71
	;; [unrolled: 1-line block ×4, first 2 shown]
; %bb.82:                               ;   in Loop: Header=BB92_12 Depth=1
	s_or_b64 exec, exec, s[12:13]
	v_lshl_add_u32 v63, v74, 2, v73
	ds_read_b32 v75, v63
	v_add_u32_e32 v76, v74, v71
	v_mov_b32_e32 v74, -1
	s_waitcnt lgkmcnt(0)
	v_cmp_lt_f32_e32 vcc, v75, v65
	v_cndmask_b32_e64 v73, -2, 2, vcc
	v_lshl_add_u32 v63, v73, 2, v63
	ds_read_b32 v67, v63
	v_add_u32_e32 v73, v73, v76
	v_cndmask_b32_e32 v71, v68, v76, vcc
	v_cndmask_b32_e32 v72, v72, v75, vcc
	v_mov_b32_e32 v68, v73
	s_waitcnt lgkmcnt(0)
	v_cmp_lt_f32_e64 s[10:11], v67, v65
	s_and_saveexec_b64 s[12:13], s[10:11]
; %bb.83:                               ;   in Loop: Header=BB92_12 Depth=1
	v_cndmask_b32_e32 v69, v75, v69, vcc
	v_cndmask_b32_e32 v68, v76, v70, vcc
	v_mov_b32_e32 v74, 1
	v_mov_b32_e32 v71, v73
	;; [unrolled: 1-line block ×4, first 2 shown]
; %bb.84:                               ;   in Loop: Header=BB92_12 Depth=1
	s_or_b64 exec, exec, s[12:13]
	v_lshl_add_u32 v63, v74, 2, v63
	ds_read_b32 v70, v63
	v_add_u32_e32 v69, v74, v73
                                        ; implicit-def: $vgpr63
	s_waitcnt lgkmcnt(0)
	v_cmp_nlt_f32_e32 vcc, v70, v65
	s_and_saveexec_b64 s[10:11], vcc
	s_xor_b64 s[10:11], exec, s[10:11]
; %bb.85:                               ;   in Loop: Header=BB92_12 Depth=1
	v_cmp_eq_u32_e32 vcc, 0, v71
	v_cndmask_b32_e32 v63, v72, v9, vcc
	v_add_f32_e32 v63, v70, v63
	v_mul_f32_e32 v63, 0.5, v63
	v_cmp_gt_f32_e32 vcc, v63, v65
	v_cndmask_b32_e32 v63, v69, v71, vcc
                                        ; implicit-def: $vgpr68
                                        ; implicit-def: $vgpr67
                                        ; implicit-def: $vgpr70
                                        ; implicit-def: $vgpr65
                                        ; implicit-def: $vgpr69
; %bb.86:                               ;   in Loop: Header=BB92_12 Depth=1
	s_andn2_saveexec_b64 s[10:11], s[10:11]
; %bb.87:                               ;   in Loop: Header=BB92_12 Depth=1
	v_cmp_eq_u32_e32 vcc, s35, v68
	v_cndmask_b32_e32 v63, v67, v11, vcc
	v_add_f32_e32 v63, v70, v63
	v_mul_f32_e32 v63, 0.5, v63
	v_cmp_lt_f32_e32 vcc, v63, v65
	v_cndmask_b32_e32 v63, v69, v68, vcc
; %bb.88:                               ;   in Loop: Header=BB92_12 Depth=1
	s_or_b64 exec, exec, s[10:11]
	v_lshlrev_b32_sdwa v67, v49, v66 dst_sel:DWORD dst_unused:UNUSED_PAD src0_sel:DWORD src1_sel:BYTE_2
	ds_read_b32 v67, v67 offset:8448
	v_cvt_f32_f16_e32 v65, v13
	v_mov_b32_e32 v71, -16
	v_mul_f32_e32 v68, s25, v65
	s_waitcnt lgkmcnt(0)
	v_mul_f32_e32 v65, v67, v61
	v_mul_f32_e32 v65, s14, v65
	v_fmac_f32_e32 v65, v42, v68
	v_mul_f32_e32 v67, v18, v65
	v_cmp_lt_f32_e32 vcc, v15, v67
	v_cndmask_b32_e32 v75, 63, v51, vcc
	v_lshlrev_b32_e32 v69, 2, v75
	ds_read_b32 v76, v69 offset:8448
	v_or_b32_e32 v69, 0x2100, v69
	v_cndmask_b32_e32 v70, 0, v50, vcc
	v_cndmask_b32_e32 v74, -1.0, v15, vcc
	s_waitcnt lgkmcnt(0)
	v_cmp_lt_f32_e64 s[10:11], v76, v67
	v_cndmask_b32_e64 v77, v52, 32, s[10:11]
	v_lshl_add_u32 v72, v77, 2, v69
	ds_read_b32 v69, v72
	v_add_u32_e32 v77, v75, v77
	v_cndmask_b32_e64 v73, v70, v75, s[10:11]
	v_cndmask_b32_e64 v74, v74, v76, s[10:11]
	v_mov_b32_e32 v70, v77
	s_waitcnt lgkmcnt(0)
	v_cmp_lt_f32_e64 s[12:13], v69, v67
	s_and_saveexec_b64 s[18:19], s[12:13]
; %bb.89:                               ;   in Loop: Header=BB92_12 Depth=1
	v_cndmask_b32_e32 v70, v50, v53, vcc
	v_cndmask_b32_e64 v71, v15, 1.0, vcc
	v_cndmask_b32_e64 v70, v75, v70, s[10:11]
	v_cndmask_b32_e64 v75, v76, v71, s[10:11]
	v_mov_b32_e32 v71, 16
	v_mov_b32_e32 v73, v77
	;; [unrolled: 1-line block ×4, first 2 shown]
; %bb.90:                               ;   in Loop: Header=BB92_12 Depth=1
	s_or_b64 exec, exec, s[18:19]
	v_lshl_add_u32 v72, v71, 2, v72
	ds_read_b32 v78, v72
	v_add_u32_e32 v79, v71, v77
	v_mov_b32_e32 v77, -4
	s_waitcnt lgkmcnt(0)
	v_cmp_lt_f32_e32 vcc, v78, v67
	v_cndmask_b32_e64 v80, -8, 8, vcc
	v_lshl_add_u32 v76, v80, 2, v72
	ds_read_b32 v72, v76
	v_cndmask_b32_e32 v75, v74, v78, vcc
	v_add_u32_e32 v74, v80, v79
	v_cndmask_b32_e32 v71, v73, v79, vcc
	v_mov_b32_e32 v73, v74
	s_waitcnt lgkmcnt(0)
	v_cmp_lt_f32_e64 s[10:11], v72, v67
	s_and_saveexec_b64 s[12:13], s[10:11]
; %bb.91:                               ;   in Loop: Header=BB92_12 Depth=1
	v_cndmask_b32_e32 v69, v78, v69, vcc
	v_cndmask_b32_e32 v73, v79, v70, vcc
	v_mov_b32_e32 v77, 4
	v_mov_b32_e32 v71, v74
	;; [unrolled: 1-line block ×4, first 2 shown]
; %bb.92:                               ;   in Loop: Header=BB92_12 Depth=1
	s_or_b64 exec, exec, s[12:13]
	v_lshl_add_u32 v69, v77, 2, v76
	ds_read_b32 v78, v69
	v_add_u32_e32 v79, v77, v74
	v_mov_b32_e32 v77, -1
	s_waitcnt lgkmcnt(0)
	v_cmp_lt_f32_e32 vcc, v78, v67
	v_cndmask_b32_e64 v76, -2, 2, vcc
	v_lshl_add_u32 v69, v76, 2, v69
	ds_read_b32 v70, v69
	v_add_u32_e32 v76, v76, v79
	v_cndmask_b32_e32 v74, v71, v79, vcc
	v_cndmask_b32_e32 v75, v75, v78, vcc
	v_mov_b32_e32 v71, v76
	s_waitcnt lgkmcnt(0)
	v_cmp_lt_f32_e64 s[10:11], v70, v67
	s_and_saveexec_b64 s[12:13], s[10:11]
; %bb.93:                               ;   in Loop: Header=BB92_12 Depth=1
	v_cndmask_b32_e32 v72, v78, v72, vcc
	v_cndmask_b32_e32 v71, v79, v73, vcc
	v_mov_b32_e32 v77, 1
	v_mov_b32_e32 v74, v76
	;; [unrolled: 1-line block ×4, first 2 shown]
; %bb.94:                               ;   in Loop: Header=BB92_12 Depth=1
	s_or_b64 exec, exec, s[12:13]
	v_lshl_add_u32 v69, v77, 2, v69
	ds_read_b32 v73, v69
	v_add_u32_e32 v72, v77, v76
                                        ; implicit-def: $vgpr69
	s_waitcnt lgkmcnt(0)
	v_cmp_nlt_f32_e32 vcc, v73, v67
	s_and_saveexec_b64 s[10:11], vcc
	s_xor_b64 s[10:11], exec, s[10:11]
; %bb.95:                               ;   in Loop: Header=BB92_12 Depth=1
	v_cmp_eq_u32_e32 vcc, 0, v74
	v_cndmask_b32_e32 v69, v75, v14, vcc
	v_add_f32_e32 v69, v73, v69
	v_mul_f32_e32 v69, 0.5, v69
	v_cmp_gt_f32_e32 vcc, v69, v67
	v_cndmask_b32_e32 v69, v72, v74, vcc
                                        ; implicit-def: $vgpr71
                                        ; implicit-def: $vgpr70
                                        ; implicit-def: $vgpr73
                                        ; implicit-def: $vgpr67
                                        ; implicit-def: $vgpr72
; %bb.96:                               ;   in Loop: Header=BB92_12 Depth=1
	s_andn2_saveexec_b64 s[10:11], s[10:11]
; %bb.97:                               ;   in Loop: Header=BB92_12 Depth=1
	v_cmp_eq_u32_e32 vcc, s35, v71
	v_cndmask_b32_e32 v69, v70, v8, vcc
	v_add_f32_e32 v69, v73, v69
	v_mul_f32_e32 v69, 0.5, v69
	v_cmp_lt_f32_e32 vcc, v69, v67
	v_cndmask_b32_e32 v69, v72, v71, vcc
; %bb.98:                               ;   in Loop: Header=BB92_12 Depth=1
	s_or_b64 exec, exec, s[10:11]
	v_lshlrev_b32_e32 v67, 2, v69
	ds_read_b32 v70, v67 offset:8448
	v_perm_b32 v67, v66, v69, s41
	s_waitcnt lgkmcnt(0)
	v_xor_b32_e32 v66, v70, v65
	v_cmp_gt_i32_e32 vcc, 0, v66
	s_and_saveexec_b64 s[10:11], vcc
	s_cbranch_execz .LBB92_104
; %bb.99:                               ;   in Loop: Header=BB92_12 Depth=1
	v_cmp_nlt_f32_e32 vcc, 0, v65
	s_and_saveexec_b64 s[12:13], vcc
	s_xor_b64 s[12:13], exec, s[12:13]
; %bb.100:                              ;   in Loop: Header=BB92_12 Depth=1
	v_add_u16_e32 v66, -1, v69
	v_perm_b32 v67, v67, v66, s41
                                        ; implicit-def: $vgpr69
; %bb.101:                              ;   in Loop: Header=BB92_12 Depth=1
	s_andn2_saveexec_b64 s[12:13], s[12:13]
; %bb.102:                              ;   in Loop: Header=BB92_12 Depth=1
	v_add_u16_e32 v66, 1, v69
	v_perm_b32 v67, v67, v66, s41
; %bb.103:                              ;   in Loop: Header=BB92_12 Depth=1
	s_or_b64 exec, exec, s[12:13]
.LBB92_104:                             ;   in Loop: Header=BB92_12 Depth=1
	s_or_b64 exec, exec, s[10:11]
	v_lshlrev_b32_sdwa v62, v49, v62 dst_sel:DWORD dst_unused:UNUSED_PAD src0_sel:DWORD src1_sel:BYTE_0
	ds_read_b32 v62, v62 offset:9472
	v_mul_f32_e32 v69, v43, v68
	v_mov_b32_e32 v70, -16
	s_waitcnt lgkmcnt(0)
	v_mul_f32_e32 v62, v62, v59
	v_mul_f32_e32 v66, s15, v62
	v_fmac_f32_e32 v66, v68, v69
	v_mul_f32_e32 v68, v19, v66
	v_cmp_lt_f32_e32 vcc, v10, v68
	v_cndmask_b32_e32 v74, 63, v51, vcc
	v_lshlrev_b32_e32 v62, 2, v74
	ds_read_b32 v75, v62 offset:9472
	v_or_b32_e32 v62, 0x2500, v62
	v_cndmask_b32_e32 v69, 0, v50, vcc
	v_cndmask_b32_e32 v73, -1.0, v10, vcc
	s_waitcnt lgkmcnt(0)
	v_cmp_lt_f32_e64 s[10:11], v75, v68
	v_cndmask_b32_e64 v76, v52, 32, s[10:11]
	v_lshl_add_u32 v71, v76, 2, v62
	ds_read_b32 v62, v71
	v_add_u32_e32 v76, v74, v76
	v_cndmask_b32_e64 v72, v69, v74, s[10:11]
	v_cndmask_b32_e64 v73, v73, v75, s[10:11]
	v_mov_b32_e32 v69, v76
	s_waitcnt lgkmcnt(0)
	v_cmp_lt_f32_e64 s[12:13], v62, v68
	s_and_saveexec_b64 s[18:19], s[12:13]
; %bb.105:                              ;   in Loop: Header=BB92_12 Depth=1
	v_cndmask_b32_e32 v69, v50, v53, vcc
	v_cndmask_b32_e64 v70, v10, 1.0, vcc
	v_cndmask_b32_e64 v69, v74, v69, s[10:11]
	v_cndmask_b32_e64 v74, v75, v70, s[10:11]
	v_mov_b32_e32 v70, 16
	v_mov_b32_e32 v72, v76
	;; [unrolled: 1-line block ×4, first 2 shown]
; %bb.106:                              ;   in Loop: Header=BB92_12 Depth=1
	s_or_b64 exec, exec, s[18:19]
	v_lshl_add_u32 v71, v70, 2, v71
	ds_read_b32 v77, v71
	v_add_u32_e32 v78, v70, v76
	v_mov_b32_e32 v76, -4
	s_waitcnt lgkmcnt(0)
	v_cmp_lt_f32_e32 vcc, v77, v68
	v_cndmask_b32_e64 v79, -8, 8, vcc
	v_lshl_add_u32 v75, v79, 2, v71
	ds_read_b32 v71, v75
	v_cndmask_b32_e32 v74, v73, v77, vcc
	v_add_u32_e32 v73, v79, v78
	v_cndmask_b32_e32 v70, v72, v78, vcc
	v_mov_b32_e32 v72, v73
	s_waitcnt lgkmcnt(0)
	v_cmp_lt_f32_e64 s[10:11], v71, v68
	s_and_saveexec_b64 s[12:13], s[10:11]
; %bb.107:                              ;   in Loop: Header=BB92_12 Depth=1
	v_cndmask_b32_e32 v62, v77, v62, vcc
	v_cndmask_b32_e32 v72, v78, v69, vcc
	v_mov_b32_e32 v76, 4
	v_mov_b32_e32 v70, v73
	;; [unrolled: 1-line block ×4, first 2 shown]
; %bb.108:                              ;   in Loop: Header=BB92_12 Depth=1
	s_or_b64 exec, exec, s[12:13]
	v_lshl_add_u32 v62, v76, 2, v75
	ds_read_b32 v77, v62
	v_add_u32_e32 v78, v76, v73
	v_mov_b32_e32 v76, -1
	s_waitcnt lgkmcnt(0)
	v_cmp_lt_f32_e32 vcc, v77, v68
	v_cndmask_b32_e64 v75, -2, 2, vcc
	v_lshl_add_u32 v62, v75, 2, v62
	ds_read_b32 v69, v62
	v_add_u32_e32 v75, v75, v78
	v_cndmask_b32_e32 v73, v70, v78, vcc
	v_cndmask_b32_e32 v74, v74, v77, vcc
	v_mov_b32_e32 v70, v75
	s_waitcnt lgkmcnt(0)
	v_cmp_lt_f32_e64 s[10:11], v69, v68
	s_and_saveexec_b64 s[12:13], s[10:11]
; %bb.109:                              ;   in Loop: Header=BB92_12 Depth=1
	v_cndmask_b32_e32 v71, v77, v71, vcc
	v_cndmask_b32_e32 v70, v78, v72, vcc
	v_mov_b32_e32 v76, 1
	v_mov_b32_e32 v73, v75
	;; [unrolled: 1-line block ×4, first 2 shown]
; %bb.110:                              ;   in Loop: Header=BB92_12 Depth=1
	s_or_b64 exec, exec, s[12:13]
	v_lshl_add_u32 v62, v76, 2, v62
	ds_read_b32 v72, v62
	v_add_u32_e32 v71, v76, v75
                                        ; implicit-def: $vgpr62
	s_waitcnt lgkmcnt(0)
	v_cmp_nlt_f32_e32 vcc, v72, v68
	s_and_saveexec_b64 s[10:11], vcc
	s_xor_b64 s[10:11], exec, s[10:11]
; %bb.111:                              ;   in Loop: Header=BB92_12 Depth=1
	v_cmp_eq_u32_e32 vcc, 0, v73
	v_cndmask_b32_e32 v62, v74, v9, vcc
	v_add_f32_e32 v62, v72, v62
	v_mul_f32_e32 v62, 0.5, v62
	v_cmp_gt_f32_e32 vcc, v62, v68
	v_cndmask_b32_e32 v62, v71, v73, vcc
                                        ; implicit-def: $vgpr70
                                        ; implicit-def: $vgpr69
                                        ; implicit-def: $vgpr72
                                        ; implicit-def: $vgpr68
                                        ; implicit-def: $vgpr71
; %bb.112:                              ;   in Loop: Header=BB92_12 Depth=1
	s_andn2_saveexec_b64 s[10:11], s[10:11]
; %bb.113:                              ;   in Loop: Header=BB92_12 Depth=1
	v_cmp_eq_u32_e32 vcc, s35, v70
	v_cndmask_b32_e32 v62, v69, v11, vcc
	v_add_f32_e32 v62, v72, v62
	v_mul_f32_e32 v62, 0.5, v62
	v_cmp_lt_f32_e32 vcc, v62, v68
	v_cndmask_b32_e32 v62, v71, v70, vcc
; %bb.114:                              ;   in Loop: Header=BB92_12 Depth=1
	s_or_b64 exec, exec, s[10:11]
	v_lshlrev_b32_sdwa v68, v49, v67 dst_sel:DWORD dst_unused:UNUSED_PAD src0_sel:DWORD src1_sel:BYTE_3
	ds_read_b32 v69, v68 offset:8448
	v_cvt_f32_f16_sdwa v13, v13 dst_sel:DWORD dst_unused:UNUSED_PAD src0_sel:WORD_1
	v_mov_b32_e32 v70, -16
	v_mul_f32_e32 v68, s25, v13
	s_waitcnt lgkmcnt(0)
	v_mul_f32_e32 v13, v69, v61
	v_mul_f32_e32 v13, s14, v13
	v_fmac_f32_e32 v13, v42, v68
	v_mul_f32_e32 v61, v18, v13
	v_cmp_lt_f32_e32 vcc, v15, v61
	v_cndmask_b32_e32 v75, 63, v51, vcc
	v_lshlrev_b32_e32 v69, 2, v75
	ds_read_b32 v76, v69 offset:8448
	v_or_b32_e32 v69, 0x2100, v69
	v_cndmask_b32_e32 v71, 0, v50, vcc
	v_cndmask_b32_e32 v74, -1.0, v15, vcc
	s_waitcnt lgkmcnt(0)
	v_cmp_lt_f32_e64 s[10:11], v76, v61
	v_cndmask_b32_e64 v77, v52, 32, s[10:11]
	v_lshl_add_u32 v73, v77, 2, v69
	ds_read_b32 v69, v73
	v_add_u32_e32 v77, v75, v77
	v_cndmask_b32_e64 v72, v71, v75, s[10:11]
	v_cndmask_b32_e64 v74, v74, v76, s[10:11]
	v_mov_b32_e32 v71, v77
	s_waitcnt lgkmcnt(0)
	v_cmp_lt_f32_e64 s[12:13], v69, v61
	s_and_saveexec_b64 s[18:19], s[12:13]
; %bb.115:                              ;   in Loop: Header=BB92_12 Depth=1
	v_cndmask_b32_e64 v15, v15, 1.0, vcc
	v_cndmask_b32_e32 v70, v50, v53, vcc
	v_cndmask_b32_e64 v15, v76, v15, s[10:11]
	v_cndmask_b32_e64 v71, v75, v70, s[10:11]
	v_mov_b32_e32 v70, 16
	v_mov_b32_e32 v72, v77
	;; [unrolled: 1-line block ×4, first 2 shown]
; %bb.116:                              ;   in Loop: Header=BB92_12 Depth=1
	s_or_b64 exec, exec, s[18:19]
	v_lshl_add_u32 v15, v70, 2, v73
	ds_read_b32 v78, v15
	v_add_u32_e32 v77, v70, v77
	v_mov_b32_e32 v76, -4
	s_waitcnt lgkmcnt(0)
	v_cmp_lt_f32_e32 vcc, v78, v61
	v_cndmask_b32_e64 v75, -8, 8, vcc
	v_lshl_add_u32 v15, v75, 2, v15
	ds_read_b32 v70, v15
	v_add_u32_e32 v75, v75, v77
	v_cndmask_b32_e32 v73, v72, v77, vcc
	v_cndmask_b32_e32 v74, v74, v78, vcc
	v_mov_b32_e32 v72, v75
	s_waitcnt lgkmcnt(0)
	v_cmp_lt_f32_e64 s[10:11], v70, v61
	s_and_saveexec_b64 s[12:13], s[10:11]
; %bb.117:                              ;   in Loop: Header=BB92_12 Depth=1
	v_cndmask_b32_e32 v69, v78, v69, vcc
	v_cndmask_b32_e32 v72, v77, v71, vcc
	v_mov_b32_e32 v76, 4
	v_mov_b32_e32 v73, v75
	;; [unrolled: 1-line block ×4, first 2 shown]
; %bb.118:                              ;   in Loop: Header=BB92_12 Depth=1
	s_or_b64 exec, exec, s[12:13]
	v_lshl_add_u32 v15, v76, 2, v15
	ds_read_b32 v78, v15
	v_add_u32_e32 v79, v76, v75
	v_mov_b32_e32 v77, -1
	s_waitcnt lgkmcnt(0)
	v_cmp_lt_f32_e32 vcc, v78, v61
	v_cndmask_b32_e64 v69, -2, 2, vcc
	v_lshl_add_u32 v75, v69, 2, v15
	ds_read_b32 v15, v75
	v_add_u32_e32 v76, v69, v79
	v_cndmask_b32_e32 v71, v73, v79, vcc
	v_cndmask_b32_e32 v73, v74, v78, vcc
	v_mov_b32_e32 v69, v76
	s_waitcnt lgkmcnt(0)
	v_cmp_lt_f32_e64 s[10:11], v15, v61
	s_and_saveexec_b64 s[12:13], s[10:11]
; %bb.119:                              ;   in Loop: Header=BB92_12 Depth=1
	v_cndmask_b32_e32 v70, v78, v70, vcc
	v_cndmask_b32_e32 v69, v79, v72, vcc
	v_mov_b32_e32 v77, 1
	v_mov_b32_e32 v71, v76
	;; [unrolled: 1-line block ×4, first 2 shown]
; %bb.120:                              ;   in Loop: Header=BB92_12 Depth=1
	s_or_b64 exec, exec, s[12:13]
	v_lshl_add_u32 v70, v77, 2, v75
	ds_read_b32 v74, v70
	v_add_u32_e32 v72, v77, v76
                                        ; implicit-def: $vgpr70
	s_waitcnt lgkmcnt(0)
	v_cmp_nlt_f32_e32 vcc, v74, v61
	s_and_saveexec_b64 s[10:11], vcc
	s_xor_b64 s[10:11], exec, s[10:11]
; %bb.121:                              ;   in Loop: Header=BB92_12 Depth=1
	v_cmp_eq_u32_e32 vcc, 0, v71
	v_cndmask_b32_e32 v14, v73, v14, vcc
	v_add_f32_e32 v14, v74, v14
	v_mul_f32_e32 v14, 0.5, v14
	v_cmp_gt_f32_e32 vcc, v14, v61
	v_cndmask_b32_e32 v70, v72, v71, vcc
                                        ; implicit-def: $vgpr69
                                        ; implicit-def: $vgpr15
                                        ; implicit-def: $vgpr74
                                        ; implicit-def: $vgpr61
                                        ; implicit-def: $vgpr72
; %bb.122:                              ;   in Loop: Header=BB92_12 Depth=1
	s_andn2_saveexec_b64 s[10:11], s[10:11]
; %bb.123:                              ;   in Loop: Header=BB92_12 Depth=1
	v_cmp_eq_u32_e32 vcc, s35, v69
	v_cndmask_b32_e32 v8, v15, v8, vcc
	v_add_f32_e32 v8, v74, v8
	v_mul_f32_e32 v8, 0.5, v8
	v_cmp_lt_f32_e32 vcc, v8, v61
	v_cndmask_b32_e32 v70, v72, v69, vcc
; %bb.124:                              ;   in Loop: Header=BB92_12 Depth=1
	s_or_b64 exec, exec, s[10:11]
	v_lshlrev_b32_e32 v8, 2, v70
	ds_read_b32 v14, v8 offset:8448
	v_perm_b32 v8, v67, v70, s42
	s_waitcnt lgkmcnt(0)
	v_xor_b32_e32 v14, v14, v13
	v_cmp_gt_i32_e32 vcc, 0, v14
	s_and_saveexec_b64 s[10:11], vcc
	s_cbranch_execz .LBB92_130
; %bb.125:                              ;   in Loop: Header=BB92_12 Depth=1
	v_cmp_nlt_f32_e32 vcc, 0, v13
	v_lshlrev_b16_e32 v14, 8, v70
	v_and_b32_sdwa v15, v8, s35 dst_sel:DWORD dst_unused:UNUSED_PAD src0_sel:WORD_1 src1_sel:DWORD
	s_and_saveexec_b64 s[12:13], vcc
	s_xor_b64 s[12:13], exec, s[12:13]
; %bb.126:                              ;   in Loop: Header=BB92_12 Depth=1
	v_or_b32_e32 v14, v14, v15
	v_add_u16_sdwa v14, v14, s38 dst_sel:WORD_1 dst_unused:UNUSED_PAD src0_sel:DWORD src1_sel:DWORD
	v_and_or_b32 v8, v8, s30, v14
                                        ; implicit-def: $vgpr14
                                        ; implicit-def: $vgpr15
; %bb.127:                              ;   in Loop: Header=BB92_12 Depth=1
	s_andn2_saveexec_b64 s[12:13], s[12:13]
; %bb.128:                              ;   in Loop: Header=BB92_12 Depth=1
	v_or_b32_e32 v14, v14, v15
	v_add_u16_sdwa v14, v14, s40 dst_sel:WORD_1 dst_unused:UNUSED_PAD src0_sel:DWORD src1_sel:DWORD
	v_and_or_b32 v8, v8, s30, v14
; %bb.129:                              ;   in Loop: Header=BB92_12 Depth=1
	s_or_b64 exec, exec, s[12:13]
.LBB92_130:                             ;   in Loop: Header=BB92_12 Depth=1
	s_or_b64 exec, exec, s[10:11]
	v_lshlrev_b32_sdwa v14, v49, v57 dst_sel:DWORD dst_unused:UNUSED_PAD src0_sel:DWORD src1_sel:BYTE_0
	ds_read_b32 v14, v14 offset:9472
	v_mul_f32_e32 v15, v43, v68
	v_mov_b32_e32 v61, -16
	s_waitcnt lgkmcnt(0)
	v_mul_f32_e32 v14, v14, v59
	v_mul_f32_e32 v14, s15, v14
	v_fmac_f32_e32 v14, v68, v15
	v_mul_f32_e32 v57, v19, v14
	v_cmp_lt_f32_e32 vcc, v10, v57
	v_cndmask_b32_e32 v70, 63, v51, vcc
	v_lshlrev_b32_e32 v15, 2, v70
	ds_read_b32 v71, v15 offset:9472
	v_or_b32_e32 v15, 0x2500, v15
	v_cndmask_b32_e32 v59, 0, v50, vcc
	v_cndmask_b32_e32 v69, -1.0, v10, vcc
	s_waitcnt lgkmcnt(0)
	v_cmp_lt_f32_e64 s[10:11], v71, v57
	v_cndmask_b32_e64 v72, v52, 32, s[10:11]
	v_lshl_add_u32 v68, v72, 2, v15
	ds_read_b32 v15, v68
	v_add_u32_e32 v72, v70, v72
	v_cndmask_b32_e64 v67, v59, v70, s[10:11]
	v_cndmask_b32_e64 v69, v69, v71, s[10:11]
	v_mov_b32_e32 v59, v72
	s_waitcnt lgkmcnt(0)
	v_cmp_lt_f32_e64 s[12:13], v15, v57
	s_and_saveexec_b64 s[18:19], s[12:13]
; %bb.131:                              ;   in Loop: Header=BB92_12 Depth=1
	v_cndmask_b32_e64 v10, v10, 1.0, vcc
	v_cndmask_b32_e32 v59, v50, v53, vcc
	v_cndmask_b32_e64 v10, v71, v10, s[10:11]
	v_cndmask_b32_e64 v59, v70, v59, s[10:11]
	v_mov_b32_e32 v61, 16
	v_mov_b32_e32 v67, v72
	;; [unrolled: 1-line block ×4, first 2 shown]
; %bb.132:                              ;   in Loop: Header=BB92_12 Depth=1
	s_or_b64 exec, exec, s[18:19]
	v_lshl_add_u32 v10, v61, 2, v68
	ds_read_b32 v73, v10
	v_add_u32_e32 v72, v61, v72
	v_mov_b32_e32 v71, -4
	s_waitcnt lgkmcnt(0)
	v_cmp_lt_f32_e32 vcc, v73, v57
	v_cndmask_b32_e64 v70, -8, 8, vcc
	v_lshl_add_u32 v68, v70, 2, v10
	ds_read_b32 v10, v68
	v_add_u32_e32 v70, v70, v72
	v_cndmask_b32_e32 v61, v67, v72, vcc
	v_cndmask_b32_e32 v69, v69, v73, vcc
	v_mov_b32_e32 v67, v70
	s_waitcnt lgkmcnt(0)
	v_cmp_lt_f32_e64 s[10:11], v10, v57
	s_and_saveexec_b64 s[12:13], s[10:11]
; %bb.133:                              ;   in Loop: Header=BB92_12 Depth=1
	v_cndmask_b32_e32 v15, v73, v15, vcc
	v_cndmask_b32_e32 v67, v72, v59, vcc
	v_mov_b32_e32 v71, 4
	v_mov_b32_e32 v61, v70
	;; [unrolled: 1-line block ×4, first 2 shown]
; %bb.134:                              ;   in Loop: Header=BB92_12 Depth=1
	s_or_b64 exec, exec, s[12:13]
	v_lshl_add_u32 v15, v71, 2, v68
	ds_read_b32 v72, v15
	v_add_u32_e32 v73, v71, v70
	v_mov_b32_e32 v71, -1
	s_waitcnt lgkmcnt(0)
	v_cmp_lt_f32_e32 vcc, v72, v57
	v_cndmask_b32_e64 v70, -2, 2, vcc
	v_lshl_add_u32 v15, v70, 2, v15
	ds_read_b32 v59, v15
	v_add_u32_e32 v70, v70, v73
	v_cndmask_b32_e32 v68, v61, v73, vcc
	v_cndmask_b32_e32 v69, v69, v72, vcc
	v_mov_b32_e32 v61, v70
	s_waitcnt lgkmcnt(0)
	v_cmp_lt_f32_e64 s[10:11], v59, v57
	s_and_saveexec_b64 s[12:13], s[10:11]
; %bb.135:                              ;   in Loop: Header=BB92_12 Depth=1
	v_cndmask_b32_e32 v10, v72, v10, vcc
	v_cndmask_b32_e32 v61, v73, v67, vcc
	v_mov_b32_e32 v71, 1
	v_mov_b32_e32 v68, v70
	;; [unrolled: 1-line block ×4, first 2 shown]
; %bb.136:                              ;   in Loop: Header=BB92_12 Depth=1
	s_or_b64 exec, exec, s[12:13]
	v_lshl_add_u32 v10, v71, 2, v15
	ds_read_b32 v67, v10
	v_add_u32_e32 v10, v71, v70
                                        ; implicit-def: $vgpr15
	s_waitcnt lgkmcnt(0)
	v_cmp_nlt_f32_e32 vcc, v67, v57
	s_and_saveexec_b64 s[10:11], vcc
	s_xor_b64 s[10:11], exec, s[10:11]
; %bb.137:                              ;   in Loop: Header=BB92_12 Depth=1
	v_cmp_eq_u32_e32 vcc, 0, v68
	v_cndmask_b32_e32 v9, v69, v9, vcc
	v_add_f32_e32 v9, v67, v9
	v_mul_f32_e32 v9, 0.5, v9
	v_cmp_gt_f32_e32 vcc, v9, v57
	v_cndmask_b32_e32 v15, v10, v68, vcc
                                        ; implicit-def: $vgpr10_vgpr11
                                        ; implicit-def: $vgpr61
                                        ; implicit-def: $vgpr59
                                        ; implicit-def: $vgpr67
                                        ; implicit-def: $vgpr57
                                        ; implicit-def: $vgpr10
; %bb.138:                              ;   in Loop: Header=BB92_12 Depth=1
	s_andn2_saveexec_b64 s[10:11], s[10:11]
; %bb.139:                              ;   in Loop: Header=BB92_12 Depth=1
	v_cmp_eq_u32_e32 vcc, s35, v61
	v_cndmask_b32_e32 v9, v59, v11, vcc
	v_add_f32_e32 v9, v67, v9
	v_mul_f32_e32 v9, 0.5, v9
	v_cmp_lt_f32_e32 vcc, v9, v57
	v_cndmask_b32_e32 v15, v10, v61, vcc
; %bb.140:                              ;   in Loop: Header=BB92_12 Depth=1
	s_or_b64 exec, exec, s[10:11]
	v_mul_f32_e32 v9, 0x4f800000, v60
	v_cmp_gt_f32_e32 vcc, s33, v60
	v_cndmask_b32_e32 v9, v60, v9, vcc
	v_sqrt_f32_e32 v10, v9
	v_add_u32_e32 v11, -1, v10
	v_fma_f32 v59, -v11, v10, v9
	v_add_u32_e32 v57, 1, v10
	v_cmp_ge_f32_e64 s[10:11], 0, v59
	v_cndmask_b32_e64 v11, v10, v11, s[10:11]
	v_fma_f32 v10, -v57, v10, v9
	v_cmp_lt_f32_e64 s[10:11], 0, v10
	v_cndmask_b32_e64 v10, v11, v57, s[10:11]
	v_mul_f32_e32 v11, 0x37800000, v10
	v_cndmask_b32_e32 v10, v10, v11, vcc
	v_cmp_class_f32_e32 vcc, v9, v17
	v_cndmask_b32_e32 v9, v10, v9, vcc
	v_add_f32_e32 v9, v45, v9
	v_div_scale_f32 v10, s[10:11], v9, v9, v56
	v_rcp_f32_e32 v11, v10
	v_fma_f32 v57, -v10, v11, 1.0
	v_fmac_f32_e32 v11, v57, v11
	v_div_scale_f32 v57, vcc, v56, v9, v56
	v_mul_f32_e32 v59, v57, v11
	v_fma_f32 v60, -v10, v59, v57
	v_fmac_f32_e32 v59, v60, v11
	v_fma_f32 v10, -v10, v59, v57
	v_div_fmas_f32 v10, v10, v11, v59
	v_mul_f32_e32 v11, 0x4f800000, v64
	v_cmp_gt_f32_e32 vcc, s33, v64
	v_cndmask_b32_e32 v11, v64, v11, vcc
	v_sqrt_f32_e32 v57, v11
	v_div_fixup_f32 v9, v10, v9, v56
	v_fma_mixlo_f16 v0, v44, v9, v0 op_sel_hi:[0,0,1]
	v_cvt_f32_f16_e32 v9, v0
	v_add_u32_e32 v10, -1, v57
	v_fma_f32 v56, -v10, v57, v11
	v_cmp_ge_f32_e64 s[10:11], 0, v56
	v_add_u32_e32 v56, 1, v57
	v_cndmask_b32_e64 v10, v57, v10, s[10:11]
	v_fma_f32 v57, -v56, v57, v11
	v_cmp_lt_f32_e64 s[10:11], 0, v57
	v_cndmask_b32_e64 v10, v10, v56, s[10:11]
	v_mul_f32_e32 v56, 0x37800000, v10
	v_cndmask_b32_e32 v10, v10, v56, vcc
	v_cmp_class_f32_e32 vcc, v11, v17
	v_cndmask_b32_e32 v10, v10, v11, vcc
	v_add_f32_e32 v10, v45, v10
	v_div_scale_f32 v11, s[10:11], v10, v10, v12
	v_rcp_f32_e32 v56, v11
	v_mul_f32_e32 v9, v16, v9
	v_fma_mixlo_f16 v9, v46, v9, 0
	v_cndmask_b32_e64 v0, v0, v9, s[0:1]
	v_fma_f32 v9, -v11, v56, 1.0
	v_fmac_f32_e32 v56, v9, v56
	v_div_scale_f32 v9, vcc, v12, v10, v12
	v_mul_f32_e32 v57, v9, v56
	v_fma_f32 v59, -v11, v57, v9
	v_fmac_f32_e32 v57, v59, v56
	v_fma_f32 v9, -v11, v57, v9
	v_div_fmas_f32 v9, v9, v56, v57
	v_mul_f32_e32 v11, 0x4f800000, v66
	v_cmp_gt_f32_e32 vcc, s33, v66
	v_cndmask_b32_e32 v11, v66, v11, vcc
	v_sqrt_f32_e32 v56, v11
	v_div_fixup_f32 v9, v9, v10, v12
	v_fma_mixlo_f16 v9, v44, v9, v55 op_sel_hi:[0,0,1]
	v_cvt_f32_f16_e32 v10, v9
	v_add_u32_e32 v12, -1, v56
	v_fma_f32 v55, -v12, v56, v11
	v_cmp_ge_f32_e64 s[10:11], 0, v55
	v_add_u32_e32 v55, 1, v56
	v_cndmask_b32_e64 v12, v56, v12, s[10:11]
	v_fma_f32 v56, -v55, v56, v11
	v_cmp_lt_f32_e64 s[10:11], 0, v56
	v_cndmask_b32_e64 v12, v12, v55, s[10:11]
	v_mul_f32_e32 v55, 0x37800000, v12
	v_cndmask_b32_e32 v12, v12, v55, vcc
	v_cmp_class_f32_e32 vcc, v11, v17
	v_cndmask_b32_e32 v11, v12, v11, vcc
	v_add_f32_e32 v11, v45, v11
	v_div_scale_f32 v12, s[10:11], v11, v11, v65
	v_rcp_f32_e32 v55, v12
	v_mul_f32_e32 v10, v16, v10
	v_fma_mixlo_f16 v10, v46, v10, 0
	v_cndmask_b32_e64 v9, v9, v10, s[0:1]
	v_fma_f32 v10, -v12, v55, 1.0
	v_fmac_f32_e32 v55, v10, v55
	v_div_scale_f32 v10, vcc, v65, v11, v65
	v_mul_f32_e32 v56, v10, v55
	v_fma_f32 v57, -v12, v56, v10
	v_fmac_f32_e32 v56, v57, v55
	v_mul_f32_e32 v57, 0x4f800000, v14
	v_cmp_gt_f32_e64 s[10:11], s33, v14
	v_cndmask_b32_e64 v14, v14, v57, s[10:11]
	v_sqrt_f32_e32 v57, v14
	v_fma_f32 v10, -v12, v56, v10
	v_div_fmas_f32 v10, v10, v55, v56
	v_div_fixup_f32 v10, v10, v11, v65
	v_add_u32_e32 v12, -1, v57
	v_fma_f32 v55, -v12, v57, v14
	v_cmp_ge_f32_e32 vcc, 0, v55
	v_add_u32_e32 v55, 1, v57
	v_fma_f32 v56, -v55, v57, v14
	v_cndmask_b32_e32 v12, v57, v12, vcc
	v_cmp_lt_f32_e32 vcc, 0, v56
	v_cndmask_b32_e32 v12, v12, v55, vcc
	v_mul_f32_e32 v55, 0x37800000, v12
	v_cndmask_b32_e64 v12, v12, v55, s[10:11]
	v_cmp_class_f32_e32 vcc, v14, v17
	v_cndmask_b32_e32 v12, v12, v14, vcc
	v_add_f32_e32 v12, v45, v12
	v_div_scale_f32 v14, s[10:11], v12, v12, v13
	v_rcp_f32_e32 v55, v14
	v_fma_mixlo_f16 v1, v44, v10, v1 op_sel_hi:[0,0,1]
	v_cvt_f32_f16_e32 v10, v1
	v_pack_b32_f16 v0, v0, v9
	v_fma_f32 v11, -v14, v55, 1.0
	v_fmac_f32_e32 v55, v11, v55
	v_div_scale_f32 v11, vcc, v13, v12, v13
	v_mul_f32_e32 v56, v11, v55
	v_fma_f32 v57, -v14, v56, v11
	v_fmac_f32_e32 v56, v57, v55
	v_fma_f32 v11, -v14, v56, v11
	v_div_fmas_f32 v11, v11, v55, v56
	v_div_fixup_f32 v11, v11, v12, v13
	v_fma_mixlo_f16 v11, v44, v11, v54 op_sel_hi:[0,0,1]
	v_cvt_f32_f16_e32 v12, v11
	v_mul_f32_e32 v10, v16, v10
	v_fma_mixlo_f16 v10, v46, v10, 0
	v_cndmask_b32_e64 v1, v1, v10, s[0:1]
	v_mul_f32_e32 v10, v16, v12
	v_fma_mixlo_f16 v10, v46, v10, 0
	v_cndmask_b32_e64 v10, v11, v10, s[0:1]
	v_pack_b32_f16 v1, v1, v10
	ds_write_b64 v30, v[0:1]
	; wave barrier
	ds_read_u16 v0, v26
	ds_read_u16 v55, v27
	;; [unrolled: 1-line block ×4, first 2 shown]
	s_and_saveexec_b64 s[10:11], s[2:3]
	s_cbranch_execnz .LBB92_163
; %bb.141:                              ;   in Loop: Header=BB92_12 Depth=1
	s_or_b64 exec, exec, s[10:11]
	s_and_saveexec_b64 s[10:11], s[4:5]
	s_cbranch_execnz .LBB92_164
.LBB92_142:                             ;   in Loop: Header=BB92_12 Depth=1
	s_or_b64 exec, exec, s[10:11]
	s_and_saveexec_b64 s[10:11], s[6:7]
	s_cbranch_execnz .LBB92_165
.LBB92_143:                             ;   in Loop: Header=BB92_12 Depth=1
	s_or_b64 exec, exec, s[10:11]
	s_and_saveexec_b64 s[10:11], s[8:9]
	s_cbranch_execz .LBB92_145
.LBB92_144:                             ;   in Loop: Header=BB92_12 Depth=1
	s_waitcnt lgkmcnt(0)
	global_store_short v[6:7], v54, off offset:384
.LBB92_145:                             ;   in Loop: Header=BB92_12 Depth=1
	s_or_b64 exec, exec, s[10:11]
	s_waitcnt lgkmcnt(0)
	s_barrier
	ds_write_b32 v37, v8
	; wave barrier
	ds_read_u8 v8, v34
	ds_read_u8 v7, v35
	;; [unrolled: 1-line block ×3, first 2 shown]
	s_and_saveexec_b64 s[10:11], s[2:3]
	s_cbranch_execnz .LBB92_166
; %bb.146:                              ;   in Loop: Header=BB92_12 Depth=1
	s_or_b64 exec, exec, s[10:11]
	s_and_saveexec_b64 s[10:11], s[4:5]
	s_cbranch_execnz .LBB92_167
.LBB92_147:                             ;   in Loop: Header=BB92_12 Depth=1
	s_or_b64 exec, exec, s[10:11]
	s_and_saveexec_b64 s[10:11], s[6:7]
	s_cbranch_execnz .LBB92_168
.LBB92_148:                             ;   in Loop: Header=BB92_12 Depth=1
	s_or_b64 exec, exec, s[10:11]
	s_and_saveexec_b64 s[10:11], s[8:9]
	s_cbranch_execz .LBB92_150
.LBB92_149:                             ;   in Loop: Header=BB92_12 Depth=1
	s_waitcnt lgkmcnt(0)
	global_store_byte v[2:3], v6, off offset:192
.LBB92_150:                             ;   in Loop: Header=BB92_12 Depth=1
	s_or_b64 exec, exec, s[10:11]
	s_waitcnt lgkmcnt(0)
	s_barrier
	ds_write_b8 v37, v58
	ds_write_b8 v37, v63 offset:1
	ds_write_b8 v37, v62 offset:2
	;; [unrolled: 1-line block ×3, first 2 shown]
	; wave barrier
	ds_read_u8 v6, v34
	ds_read_u8 v3, v35
	;; [unrolled: 1-line block ×3, first 2 shown]
	s_and_saveexec_b64 s[10:11], s[2:3]
	s_cbranch_execnz .LBB92_169
; %bb.151:                              ;   in Loop: Header=BB92_12 Depth=1
	s_or_b64 exec, exec, s[10:11]
	s_and_saveexec_b64 s[2:3], s[4:5]
	s_cbranch_execnz .LBB92_170
.LBB92_152:                             ;   in Loop: Header=BB92_12 Depth=1
	s_or_b64 exec, exec, s[2:3]
	s_and_saveexec_b64 s[2:3], s[6:7]
	s_cbranch_execnz .LBB92_171
.LBB92_153:                             ;   in Loop: Header=BB92_12 Depth=1
	s_or_b64 exec, exec, s[2:3]
	s_and_saveexec_b64 s[2:3], s[8:9]
	s_cbranch_execz .LBB92_10
	s_branch .LBB92_172
.LBB92_154:                             ;   in Loop: Header=BB92_12 Depth=1
	global_load_ubyte v5, v[2:3], off
	v_mov_b32_e32 v4, 0x80
	v_mov_b32_e32 v6, 0x80
	s_or_b64 exec, exec, s[12:13]
	v_mov_b32_e32 v7, v4
	s_and_saveexec_b64 s[12:13], s[4:5]
	s_cbranch_execz .LBB92_22
.LBB92_155:                             ;   in Loop: Header=BB92_12 Depth=1
	global_load_ubyte v7, v[2:3], off offset:64
	s_or_b64 exec, exec, s[12:13]
	s_and_saveexec_b64 s[12:13], s[6:7]
	s_cbranch_execz .LBB92_23
.LBB92_156:                             ;   in Loop: Header=BB92_12 Depth=1
	global_load_ubyte v4, v[2:3], off offset:128
	s_or_b64 exec, exec, s[12:13]
	s_and_saveexec_b64 s[12:13], s[8:9]
	s_cbranch_execnz .LBB92_24
	s_branch .LBB92_25
.LBB92_157:                             ;   in Loop: Header=BB92_12 Depth=1
	global_load_ubyte v7, v[4:5], off
	s_waitcnt vmcnt(0)
	v_and_b32_e32 v6, 0xffff, v7
	s_or_b64 exec, exec, s[12:13]
	s_and_saveexec_b64 s[12:13], s[4:5]
	s_cbranch_execz .LBB92_27
.LBB92_158:                             ;   in Loop: Header=BB92_12 Depth=1
	global_load_ubyte v9, v[4:5], off offset:64
	s_waitcnt vmcnt(0)
	v_lshlrev_b16_e32 v9, 8, v9
	v_or_b32_e32 v6, v6, v9
	v_and_b32_e32 v6, 0xffff, v6
	s_or_b64 exec, exec, s[12:13]
	s_and_saveexec_b64 s[12:13], s[6:7]
	s_cbranch_execz .LBB92_28
.LBB92_159:                             ;   in Loop: Header=BB92_12 Depth=1
	global_load_ubyte v9, v[4:5], off offset:128
	s_waitcnt vmcnt(0)
	v_lshl_or_b32 v6, v9, 16, v6
	s_or_b64 exec, exec, s[12:13]
	s_and_saveexec_b64 s[12:13], s[8:9]
	s_cbranch_execnz .LBB92_29
	s_branch .LBB92_30
.LBB92_160:                             ;   in Loop: Header=BB92_12 Depth=1
	global_load_ushort v0, v[6:7], off
	s_or_b64 exec, exec, s[10:11]
	s_and_saveexec_b64 s[10:11], s[4:5]
	s_cbranch_execz .LBB92_32
.LBB92_161:                             ;   in Loop: Header=BB92_12 Depth=1
	global_load_ushort v55, v[6:7], off offset:128
	s_or_b64 exec, exec, s[10:11]
	s_and_saveexec_b64 s[10:11], s[6:7]
	s_cbranch_execz .LBB92_33
.LBB92_162:                             ;   in Loop: Header=BB92_12 Depth=1
	global_load_ushort v1, v[6:7], off offset:256
	s_or_b64 exec, exec, s[10:11]
	s_and_saveexec_b64 s[10:11], s[8:9]
	s_cbranch_execnz .LBB92_34
	s_branch .LBB92_35
.LBB92_163:                             ;   in Loop: Header=BB92_12 Depth=1
	s_waitcnt lgkmcnt(3)
	global_store_short v[6:7], v0, off
	s_or_b64 exec, exec, s[10:11]
	s_and_saveexec_b64 s[10:11], s[4:5]
	s_cbranch_execz .LBB92_142
.LBB92_164:                             ;   in Loop: Header=BB92_12 Depth=1
	s_waitcnt lgkmcnt(2)
	global_store_short v[6:7], v55, off offset:128
	s_or_b64 exec, exec, s[10:11]
	s_and_saveexec_b64 s[10:11], s[6:7]
	s_cbranch_execz .LBB92_143
.LBB92_165:                             ;   in Loop: Header=BB92_12 Depth=1
	s_waitcnt lgkmcnt(1)
	global_store_short v[6:7], v1, off offset:256
	s_or_b64 exec, exec, s[10:11]
	s_and_saveexec_b64 s[10:11], s[8:9]
	s_cbranch_execnz .LBB92_144
	s_branch .LBB92_145
.LBB92_166:                             ;   in Loop: Header=BB92_12 Depth=1
	ds_read_u8 v9, v33
	s_waitcnt lgkmcnt(0)
	global_store_byte v[2:3], v9, off
	s_or_b64 exec, exec, s[10:11]
	s_and_saveexec_b64 s[10:11], s[4:5]
	s_cbranch_execz .LBB92_147
.LBB92_167:                             ;   in Loop: Header=BB92_12 Depth=1
	s_waitcnt lgkmcnt(2)
	global_store_byte v[2:3], v8, off offset:64
	s_or_b64 exec, exec, s[10:11]
	s_and_saveexec_b64 s[10:11], s[6:7]
	s_cbranch_execz .LBB92_148
.LBB92_168:                             ;   in Loop: Header=BB92_12 Depth=1
	s_waitcnt lgkmcnt(1)
	global_store_byte v[2:3], v7, off offset:128
	s_or_b64 exec, exec, s[10:11]
	s_and_saveexec_b64 s[10:11], s[8:9]
	s_cbranch_execnz .LBB92_149
	s_branch .LBB92_150
.LBB92_169:                             ;   in Loop: Header=BB92_12 Depth=1
	ds_read_u8 v7, v33
	s_waitcnt lgkmcnt(0)
	global_store_byte v[4:5], v7, off
	s_or_b64 exec, exec, s[10:11]
	s_and_saveexec_b64 s[2:3], s[4:5]
	s_cbranch_execz .LBB92_152
.LBB92_170:                             ;   in Loop: Header=BB92_12 Depth=1
	s_waitcnt lgkmcnt(2)
	global_store_byte v[4:5], v6, off offset:64
	s_or_b64 exec, exec, s[2:3]
	s_and_saveexec_b64 s[2:3], s[6:7]
	s_cbranch_execz .LBB92_153
.LBB92_171:                             ;   in Loop: Header=BB92_12 Depth=1
	s_waitcnt lgkmcnt(1)
	global_store_byte v[4:5], v3, off offset:128
	s_or_b64 exec, exec, s[2:3]
	s_and_saveexec_b64 s[2:3], s[8:9]
	s_cbranch_execz .LBB92_10
.LBB92_172:                             ;   in Loop: Header=BB92_12 Depth=1
	s_waitcnt lgkmcnt(0)
	global_store_byte v[4:5], v2, off offset:192
	s_branch .LBB92_10
.LBB92_173:
	s_endpgm
	.section	.rodata,"a",@progbits
	.p2align	6, 0x0
	.amdhsa_kernel _Z26kOptimizerStatic8bit2StateI6__halfLi0EEvPT_S2_PhS3_PKffffffifPfS6_S6_S6_S6_S6_ffi
		.amdhsa_group_segment_fixed_size 10496
		.amdhsa_private_segment_fixed_size 0
		.amdhsa_kernarg_size 392
		.amdhsa_user_sgpr_count 6
		.amdhsa_user_sgpr_private_segment_buffer 1
		.amdhsa_user_sgpr_dispatch_ptr 0
		.amdhsa_user_sgpr_queue_ptr 0
		.amdhsa_user_sgpr_kernarg_segment_ptr 1
		.amdhsa_user_sgpr_dispatch_id 0
		.amdhsa_user_sgpr_flat_scratch_init 0
		.amdhsa_user_sgpr_kernarg_preload_length 0
		.amdhsa_user_sgpr_kernarg_preload_offset 0
		.amdhsa_user_sgpr_private_segment_size 0
		.amdhsa_uses_dynamic_stack 0
		.amdhsa_system_sgpr_private_segment_wavefront_offset 0
		.amdhsa_system_sgpr_workgroup_id_x 1
		.amdhsa_system_sgpr_workgroup_id_y 0
		.amdhsa_system_sgpr_workgroup_id_z 0
		.amdhsa_system_sgpr_workgroup_info 0
		.amdhsa_system_vgpr_workitem_id 0
		.amdhsa_next_free_vgpr 81
		.amdhsa_next_free_sgpr 44
		.amdhsa_accum_offset 84
		.amdhsa_reserve_vcc 1
		.amdhsa_reserve_flat_scratch 0
		.amdhsa_float_round_mode_32 0
		.amdhsa_float_round_mode_16_64 0
		.amdhsa_float_denorm_mode_32 3
		.amdhsa_float_denorm_mode_16_64 3
		.amdhsa_dx10_clamp 1
		.amdhsa_ieee_mode 1
		.amdhsa_fp16_overflow 0
		.amdhsa_tg_split 0
		.amdhsa_exception_fp_ieee_invalid_op 0
		.amdhsa_exception_fp_denorm_src 0
		.amdhsa_exception_fp_ieee_div_zero 0
		.amdhsa_exception_fp_ieee_overflow 0
		.amdhsa_exception_fp_ieee_underflow 0
		.amdhsa_exception_fp_ieee_inexact 0
		.amdhsa_exception_int_div_zero 0
	.end_amdhsa_kernel
	.section	.text._Z26kOptimizerStatic8bit2StateI6__halfLi0EEvPT_S2_PhS3_PKffffffifPfS6_S6_S6_S6_S6_ffi,"axG",@progbits,_Z26kOptimizerStatic8bit2StateI6__halfLi0EEvPT_S2_PhS3_PKffffffifPfS6_S6_S6_S6_S6_ffi,comdat
.Lfunc_end92:
	.size	_Z26kOptimizerStatic8bit2StateI6__halfLi0EEvPT_S2_PhS3_PKffffffifPfS6_S6_S6_S6_S6_ffi, .Lfunc_end92-_Z26kOptimizerStatic8bit2StateI6__halfLi0EEvPT_S2_PhS3_PKffffffifPfS6_S6_S6_S6_S6_ffi
                                        ; -- End function
	.section	.AMDGPU.csdata,"",@progbits
; Kernel info:
; codeLenInByte = 10496
; NumSgprs: 48
; NumVgprs: 81
; NumAgprs: 0
; TotalNumVgprs: 81
; ScratchSize: 0
; MemoryBound: 0
; FloatMode: 240
; IeeeMode: 1
; LDSByteSize: 10496 bytes/workgroup (compile time only)
; SGPRBlocks: 5
; VGPRBlocks: 10
; NumSGPRsForWavesPerEU: 48
; NumVGPRsForWavesPerEU: 81
; AccumOffset: 84
; Occupancy: 5
; WaveLimiterHint : 0
; COMPUTE_PGM_RSRC2:SCRATCH_EN: 0
; COMPUTE_PGM_RSRC2:USER_SGPR: 6
; COMPUTE_PGM_RSRC2:TRAP_HANDLER: 0
; COMPUTE_PGM_RSRC2:TGID_X_EN: 1
; COMPUTE_PGM_RSRC2:TGID_Y_EN: 0
; COMPUTE_PGM_RSRC2:TGID_Z_EN: 0
; COMPUTE_PGM_RSRC2:TIDIG_COMP_CNT: 0
; COMPUTE_PGM_RSRC3_GFX90A:ACCUM_OFFSET: 20
; COMPUTE_PGM_RSRC3_GFX90A:TG_SPLIT: 0
	.section	.text._Z26kOptimizerStatic8bit2StateIfLi0EEvPT_S1_PhS2_PKffffffifPfS5_S5_S5_S5_S5_ffi,"axG",@progbits,_Z26kOptimizerStatic8bit2StateIfLi0EEvPT_S1_PhS2_PKffffffifPfS5_S5_S5_S5_S5_ffi,comdat
